;; amdgpu-corpus repo=ROCm/rocFFT kind=compiled arch=gfx1100 opt=O3
	.text
	.amdgcn_target "amdgcn-amd-amdhsa--gfx1100"
	.amdhsa_code_object_version 6
	.protected	bluestein_single_back_len3840_dim1_half_op_CI_CI ; -- Begin function bluestein_single_back_len3840_dim1_half_op_CI_CI
	.globl	bluestein_single_back_len3840_dim1_half_op_CI_CI
	.p2align	8
	.type	bluestein_single_back_len3840_dim1_half_op_CI_CI,@function
bluestein_single_back_len3840_dim1_half_op_CI_CI: ; @bluestein_single_back_len3840_dim1_half_op_CI_CI
; %bb.0:
	s_load_b128 s[16:19], s[0:1], 0x28
	v_mov_b32_e32 v241, v0
	s_mov_b32 s2, s15
	s_mov_b32 s3, 0
	s_mov_b32 s5, exec_lo
	s_waitcnt lgkmcnt(0)
	v_cmpx_lt_u64_e64 s[2:3], s[16:17]
	s_cbranch_execz .LBB0_2
; %bb.1:
	s_clause 0x1
	s_load_b128 s[8:11], s[0:1], 0x18
	s_load_b128 s[4:7], s[0:1], 0x0
	v_dual_mov_b32 v2, s2 :: v_dual_mov_b32 v3, s3
	v_or_b32_e32 v42, 0x680, v241
	v_or_b32_e32 v43, 0x480, v241
	;; [unrolled: 1-line block ×3, first 2 shown]
	s_delay_alu instid0(VALU_DEP_4)
	v_mov_b32_e32 v6, v2
	s_load_b64 s[0:1], s[0:1], 0x38
	v_lshlrev_b32_e32 v207, 2, v42
	v_lshlrev_b32_e32 v238, 2, v43
	;; [unrolled: 1-line block ×4, first 2 shown]
	s_delay_alu instid0(VALU_DEP_1)
	v_or_b32_e32 v206, 0x2400, v58
	v_or_b32_e32 v208, 0x2600, v58
	;; [unrolled: 1-line block ×3, first 2 shown]
	s_waitcnt lgkmcnt(0)
	s_load_b128 s[12:15], s[8:9], 0x0
	s_add_u32 s2, s4, 0x3c00
	s_addc_u32 s3, s5, 0
	v_or_b32_e32 v212, 0x3200, v58
	v_add_nc_u32_e32 v165, 0x80, v58
	s_waitcnt lgkmcnt(0)
	v_mad_u64_u32 v[0:1], null, s14, v2, 0
	v_mad_u64_u32 v[2:3], null, s12, v241, 0
	s_mul_i32 s9, s13, 0x600
	s_mul_hi_u32 s14, s12, 0x600
	s_mul_i32 s8, s12, 0x600
	s_add_i32 s9, s14, s9
	s_delay_alu instid0(VALU_DEP_1) | instskip(NEXT) | instid1(VALU_DEP_1)
	v_mad_u64_u32 v[4:5], null, s15, v6, v[1:2]
	v_mov_b32_e32 v1, v4
	scratch_store_b64 off, v[6:7], off offset:176 ; 8-byte Folded Spill
	v_mad_u64_u32 v[5:6], null, s13, v241, v[3:4]
	s_mulk_i32 s13, 0xcc00
	v_lshlrev_b64 v[0:1], 2, v[0:1]
	s_sub_i32 s13, s13, s12
	s_delay_alu instid0(VALU_DEP_2) | instskip(NEXT) | instid1(VALU_DEP_2)
	v_mov_b32_e32 v3, v5
	v_add_co_u32 v0, vcc_lo, s18, v0
	s_delay_alu instid0(VALU_DEP_3) | instskip(NEXT) | instid1(VALU_DEP_3)
	v_add_co_ci_u32_e32 v1, vcc_lo, s19, v1, vcc_lo
	v_lshlrev_b64 v[2:3], 2, v[2:3]
	s_delay_alu instid0(VALU_DEP_1) | instskip(NEXT) | instid1(VALU_DEP_2)
	v_add_co_u32 v7, vcc_lo, v0, v2
	v_add_co_ci_u32_e32 v8, vcc_lo, v1, v3, vcc_lo
	global_load_b32 v119, v58, s[4:5]
	global_load_b32 v0, v[7:8], off
	v_add_co_u32 v9, vcc_lo, v7, s8
	v_add_co_ci_u32_e32 v10, vcc_lo, s9, v8, vcc_lo
	s_delay_alu instid0(VALU_DEP_2) | instskip(NEXT) | instid1(VALU_DEP_2)
	v_add_co_u32 v11, vcc_lo, v9, s8
	v_add_co_ci_u32_e32 v12, vcc_lo, s9, v10, vcc_lo
	s_delay_alu instid0(VALU_DEP_2) | instskip(NEXT) | instid1(VALU_DEP_2)
	;; [unrolled: 3-line block ×8, first 2 shown]
	v_add_co_u32 v1, vcc_lo, v19, s8
	v_add_co_ci_u32_e32 v2, vcc_lo, s9, v20, vcc_lo
	s_delay_alu instid0(VALU_DEP_1) | instskip(NEXT) | instid1(VALU_DEP_1)
	v_mad_u64_u32 v[21:22], null, 0xffffcc00, s12, v[1:2]
	v_add_nc_u32_e32 v22, s13, v22
	global_load_b32 v49, v58, s[4:5] offset:512
	global_load_b32 v23, v[21:22], off
	global_load_b32 v182, v58, s[4:5] offset:3072
	global_load_b32 v24, v[11:12], off
	v_add_co_u32 v7, vcc_lo, v21, s8
	v_add_co_ci_u32_e32 v8, vcc_lo, s9, v22, vcc_lo
	v_or_b32_e32 v21, 0x600, v241
	s_delay_alu instid0(VALU_DEP_3) | instskip(NEXT) | instid1(VALU_DEP_3)
	v_add_co_u32 v11, vcc_lo, v7, s8
	v_add_co_ci_u32_e32 v12, vcc_lo, s9, v8, vcc_lo
	global_load_b32 v47, v58, s[4:5] offset:3584
	global_load_b32 v22, v[11:12], off
	v_lshlrev_b32_e32 v234, 2, v21
	v_add_co_u32 v11, vcc_lo, v11, s8
	v_add_co_ci_u32_e32 v12, vcc_lo, s9, v12, vcc_lo
	global_load_b32 v187, v234, s[4:5]
	global_load_b32 v25, v[15:16], off
	v_add_co_u32 v15, vcc_lo, v11, s8
	v_add_co_ci_u32_e32 v16, vcc_lo, s9, v12, vcc_lo
	global_load_b32 v45, v207, s[4:5]
	global_load_b32 v26, v[15:16], off
	v_add_co_u32 v15, vcc_lo, v15, s8
	global_load_b32 v233, v206, s[4:5]
	global_load_b32 v27, v[17:18], off
	v_add_co_ci_u32_e32 v16, vcc_lo, s9, v16, vcc_lo
	v_add_co_u32 v17, vcc_lo, v15, s8
	s_delay_alu instid0(VALU_DEP_2)
	v_add_co_ci_u32_e32 v18, vcc_lo, s9, v16, vcc_lo
	global_load_b32 v41, v208, s[4:5]
	global_load_b32 v28, v[17:18], off
	global_load_b32 v48, v209, s[4:5]
	global_load_b32 v29, v[19:20], off
	v_add_co_u32 v17, vcc_lo, v17, s8
	v_add_co_ci_u32_e32 v18, vcc_lo, s9, v18, vcc_lo
	s_delay_alu instid0(VALU_DEP_2) | instskip(NEXT) | instid1(VALU_DEP_2)
	v_add_co_u32 v19, vcc_lo, v17, s8
	v_add_co_ci_u32_e32 v20, vcc_lo, s9, v18, vcc_lo
	global_load_b32 v40, v212, s[4:5]
	global_load_b32 v30, v[19:20], off
	global_load_b32 v113, v58, s[4:5] offset:1536
	s_clause 0x1
	global_load_b32 v31, v[13:14], off
	global_load_b32 v32, v[9:10], off
	v_add_co_u32 v9, vcc_lo, v19, s8
	v_add_co_ci_u32_e32 v10, vcc_lo, s9, v20, vcc_lo
	s_clause 0x1
	global_load_b32 v46, v58, s[4:5] offset:2048
	global_load_b32 v38, v58, s[4:5] offset:2560
	v_mad_u64_u32 v[13:14], null, 0xffffcc00, s12, v[9:10]
	s_delay_alu instid0(VALU_DEP_1)
	v_add_nc_u32_e32 v14, s13, v14
	global_load_b32 v39, v58, s[4:5] offset:1024
	global_load_b32 v19, v[13:14], off
	global_load_b32 v20, v[7:8], off
	v_add_co_u32 v7, vcc_lo, v13, s8
	v_add_co_ci_u32_e32 v8, vcc_lo, s9, v14, vcc_lo
	global_load_b32 v181, v238, s[4:5]
	global_load_b32 v13, v[7:8], off
	v_add_co_u32 v7, vcc_lo, v7, s8
	v_add_co_ci_u32_e32 v8, vcc_lo, s9, v8, vcc_lo
	global_load_b32 v37, v228, s[4:5]
	global_load_b32 v14, v[7:8], off
	global_load_b32 v36, v[11:12], off
	v_add_co_u32 v7, vcc_lo, v7, s8
	v_add_co_ci_u32_e32 v8, vcc_lo, s9, v8, vcc_lo
	global_load_b32 v2, v[1:2], off
	s_waitcnt vmcnt(33)
	v_lshrrev_b32_e32 v35, 16, v119
	s_waitcnt vmcnt(32)
	v_lshrrev_b32_e32 v33, 16, v0
	s_delay_alu instid0(VALU_DEP_2) | instskip(NEXT) | instid1(VALU_DEP_2)
	v_mul_f16_e32 v34, v35, v0
	v_mul_f16_e32 v35, v35, v33
	s_delay_alu instid0(VALU_DEP_2) | instskip(NEXT) | instid1(VALU_DEP_2)
	v_fma_f16 v11, v119, v33, -v34
	v_fmac_f16_e32 v35, v119, v0
	v_or_b32_e32 v34, 0x1e00, v58
	s_delay_alu instid0(VALU_DEP_2)
	v_pack_b32_f16 v11, v35, v11
	global_load_b32 v183, v34, s[4:5]
	v_or_b32_e32 v35, 0x3a00, v58
	s_waitcnt vmcnt(32)
	v_lshrrev_b32_e32 v50, 16, v49
	s_waitcnt vmcnt(31)
	v_lshrrev_b32_e32 v0, 16, v23
	;; [unrolled: 2-line block ×3, first 2 shown]
	v_mul_f16_e32 v12, v50, v23
	s_delay_alu instid0(VALU_DEP_1) | instskip(SKIP_1) | instid1(VALU_DEP_1)
	v_fma_f16 v12, v49, v0, -v12
	v_mul_f16_e32 v0, v50, v0
	v_fmac_f16_e32 v0, v49, v23
	s_waitcnt vmcnt(29)
	v_lshrrev_b32_e32 v23, 16, v24
	s_delay_alu instid0(VALU_DEP_2)
	v_pack_b32_f16 v0, v0, v12
	v_mul_f16_e32 v12, v33, v24
	ds_store_2addr_stride64_b32 v58, v11, v0 offset1:2
	v_fma_f16 v12, v182, v23, -v12
	v_mul_f16_e32 v23, v33, v23
	s_waitcnt vmcnt(27)
	v_lshrrev_b32_e32 v0, 16, v22
	v_or_b32_e32 v33, 0x2000, v58
	s_delay_alu instid0(VALU_DEP_3) | instskip(SKIP_1) | instid1(VALU_DEP_2)
	v_fmac_f16_e64 v23, v182, v24
	v_lshrrev_b32_e32 v24, 16, v47
	v_pack_b32_f16 v12, v23, v12
	s_delay_alu instid0(VALU_DEP_2)
	v_mul_f16_e32 v11, v24, v22
	s_waitcnt vmcnt(24)
	v_lshrrev_b32_e32 v23, 16, v45
	scratch_store_b32 off, v24, off offset:148 ; 4-byte Folded Spill
	v_fma_f16 v11, v47, v0, -v11
	scratch_store_b32 off, v23, off offset:132 ; 4-byte Folded Spill
	v_mul_f16_e32 v0, v24, v0
	v_lshrrev_b32_e32 v24, 16, v187
	s_delay_alu instid0(VALU_DEP_2) | instskip(SKIP_1) | instid1(VALU_DEP_2)
	v_fmac_f16_e32 v0, v47, v22
	v_lshrrev_b32_e32 v22, 16, v25
	v_pack_b32_f16 v0, v0, v11
	s_delay_alu instid0(VALU_DEP_4)
	v_mul_f16_e32 v11, v24, v25
	s_waitcnt vmcnt(11)
	scratch_store_b32 off, v46, off offset:140 ; 4-byte Folded Spill
	ds_store_2addr_stride64_b32 v58, v12, v0 offset0:12 offset1:14
	v_lshrrev_b32_e32 v0, 16, v26
	v_mul_f16_e32 v12, v23, v26
	v_fma_f16 v11, v187, v22, -v11
	v_mul_f16_e32 v22, v24, v22
	s_delay_alu instid0(VALU_DEP_3) | instskip(SKIP_1) | instid1(VALU_DEP_3)
	v_fma_f16 v12, v45, v0, -v12
	v_mul_f16_e32 v0, v23, v0
	v_fmac_f16_e64 v22, v187, v25
	v_lshrrev_b32_e32 v23, 16, v233
	s_delay_alu instid0(VALU_DEP_3) | instskip(NEXT) | instid1(VALU_DEP_3)
	v_fmac_f16_e32 v0, v45, v26
	v_pack_b32_f16 v11, v22, v11
	v_lshrrev_b32_e32 v22, 16, v27
	s_delay_alu instid0(VALU_DEP_3)
	v_pack_b32_f16 v0, v0, v12
	v_mul_f16_e32 v12, v23, v27
	ds_store_2addr_stride64_b32 v58, v11, v0 offset0:24 offset1:26
	v_fma_f16 v12, v233, v22, -v12
	v_mul_f16_e32 v22, v23, v22
	v_lshrrev_b32_e32 v23, 16, v41
	v_lshrrev_b32_e32 v0, 16, v28
	scratch_store_b32 off, v50, off offset:156 ; 4-byte Folded Spill
	v_fmac_f16_e64 v22, v233, v27
	scratch_store_b32 off, v23, off offset:108 ; 4-byte Folded Spill
	v_mul_f16_e32 v11, v23, v28
	v_pack_b32_f16 v12, v22, v12
	v_lshrrev_b32_e32 v22, 16, v29
	s_delay_alu instid0(VALU_DEP_3) | instskip(SKIP_2) | instid1(VALU_DEP_2)
	v_fma_f16 v11, v41, v0, -v11
	v_mul_f16_e32 v0, v23, v0
	v_lshrrev_b32_e32 v23, 16, v48
	v_fmac_f16_e32 v0, v41, v28
	scratch_store_b32 off, v23, off offset:164 ; 4-byte Folded Spill
	v_pack_b32_f16 v0, v0, v11
	v_mul_f16_e32 v11, v23, v29
	ds_store_2addr_stride64_b32 v58, v12, v0 offset0:36 offset1:38
	v_fma_f16 v11, v48, v22, -v11
	v_mul_f16_e32 v22, v23, v22
	v_lshrrev_b32_e32 v23, 16, v40
	v_lshrrev_b32_e32 v0, 16, v30
	s_delay_alu instid0(VALU_DEP_3) | instskip(NEXT) | instid1(VALU_DEP_3)
	v_fmac_f16_e32 v22, v48, v29
	v_mul_f16_e32 v12, v23, v30
	scratch_store_b32 off, v23, off offset:92 ; 4-byte Folded Spill
	v_or_b32_e32 v29, 0x3600, v58
	v_pack_b32_f16 v11, v22, v11
	v_fma_f16 v12, v40, v0, -v12
	v_mul_f16_e32 v0, v23, v0
	v_lshrrev_b32_e32 v23, 16, v113
	v_lshrrev_b32_e32 v22, 16, v32
	s_delay_alu instid0(VALU_DEP_3) | instskip(SKIP_1) | instid1(VALU_DEP_2)
	v_fmac_f16_e32 v0, v40, v30
	v_or_b32_e32 v30, 0x3800, v58
	v_pack_b32_f16 v0, v0, v12
	v_mul_f16_e32 v12, v23, v32
	ds_store_2addr_stride64_b32 v58, v11, v0 offset0:48 offset1:50
	v_fma_f16 v12, v113, v22, -v12
	v_mul_f16_e32 v22, v23, v22
	s_waitcnt vmcnt(9)
	v_lshrrev_b32_e32 v23, 16, v39
	s_waitcnt vmcnt(8)
	v_lshrrev_b32_e32 v0, 16, v19
	scratch_store_b32 off, v45, off offset:120 ; 4-byte Folded Spill
	v_or_b32_e32 v45, 0x700, v241
	v_fmac_f16_e32 v22, v113, v32
	scratch_store_b32 off, v23, off offset:76 ; 4-byte Folded Spill
	v_mul_f16_e32 v11, v23, v19
	v_or_b32_e32 v32, 0x2c00, v58
	v_pack_b32_f16 v12, v22, v12
	s_delay_alu instid0(VALU_DEP_3) | instskip(SKIP_2) | instid1(VALU_DEP_2)
	v_fma_f16 v11, v39, v0, -v11
	v_mul_f16_e32 v0, v23, v0
	v_lshrrev_b32_e32 v23, 16, v46
	v_fmac_f16_e32 v0, v39, v19
	s_waitcnt vmcnt(7)
	v_lshrrev_b32_e32 v19, 16, v20
	s_delay_alu instid0(VALU_DEP_2)
	v_pack_b32_f16 v0, v0, v11
	v_mul_f16_e32 v11, v23, v20
	ds_store_2addr_stride64_b32 v58, v0, v12 offset0:4 offset1:6
	v_fma_f16 v11, v46, v19, -v11
	v_mul_f16_e32 v19, v23, v19
	s_waitcnt vmcnt(5)
	v_lshrrev_b32_e32 v0, 16, v13
	s_delay_alu instid0(VALU_DEP_2) | instskip(SKIP_2) | instid1(VALU_DEP_3)
	v_fmac_f16_e32 v19, v46, v20
	v_lshrrev_b32_e32 v20, 16, v38
	v_or_b32_e32 v46, 0x500, v241
	v_pack_b32_f16 v11, v19, v11
	s_delay_alu instid0(VALU_DEP_3)
	v_mul_f16_e32 v12, v20, v13
	scratch_store_b32 off, v20, off offset:68 ; 4-byte Folded Spill
	s_waitcnt vmcnt(4)
	v_lshrrev_b32_e32 v19, 16, v37
	s_clause 0x1
	scratch_store_b32 off, v37, off offset:56
	scratch_store_b32 off, v38, off offset:64
	v_fma_f16 v12, v38, v0, -v12
	v_mul_f16_e32 v0, v20, v0
	s_clause 0x1
	scratch_store_b32 off, v47, off offset:136
	scratch_store_b32 off, v40, off offset:88
	v_lshrrev_b32_e32 v20, 16, v181
	v_lshlrev_b32_e32 v240, 2, v46
	v_fmac_f16_e32 v0, v38, v13
	v_lshrrev_b32_e32 v13, 16, v31
	v_or_b32_e32 v47, 0x580, v241
	scratch_store_b32 off, v19, off offset:60 ; 4-byte Folded Spill
	v_lshlrev_b32_e32 v38, 2, v45
	v_pack_b32_f16 v0, v0, v12
	v_mul_f16_e32 v12, v20, v31
	v_or_b32_e32 v40, 0x2800, v58
	ds_store_2addr_stride64_b32 v58, v11, v0 offset0:8 offset1:10
	v_fma_f16 v12, v181, v13, -v12
	v_mul_f16_e32 v13, v20, v13
	s_waitcnt vmcnt(3)
	v_lshrrev_b32_e32 v0, 16, v14
	v_mul_f16_e32 v11, v19, v14
	s_delay_alu instid0(VALU_DEP_3) | instskip(SKIP_1) | instid1(VALU_DEP_3)
	v_fmac_f16_e64 v13, v181, v31
	v_or_b32_e32 v31, 0x2a00, v58
	v_fma_f16 v11, v37, v0, -v11
	v_mul_f16_e32 v0, v19, v0
	s_delay_alu instid0(VALU_DEP_4)
	v_pack_b32_f16 v12, v13, v12
	s_clause 0x1
	global_load_b32 v13, v240, s[4:5]
	global_load_b32 v239, v31, s[4:5]
	v_fmac_f16_e32 v0, v37, v14
	v_lshlrev_b32_e32 v37, 2, v47
	s_delay_alu instid0(VALU_DEP_2)
	v_pack_b32_f16 v0, v0, v11
	global_load_b32 v19, v37, s[4:5]
	v_add_co_u32 v11, vcc_lo, v7, s8
	ds_store_2addr_stride64_b32 v58, v0, v12 offset0:16 offset1:18
	global_load_b32 v0, v[7:8], off
	v_add_co_ci_u32_e32 v12, vcc_lo, s9, v8, vcc_lo
	s_waitcnt vmcnt(6)
	v_lshrrev_b32_e32 v7, 16, v36
	s_waitcnt vmcnt(3)
	v_lshrrev_b32_e32 v14, 16, v13
	s_clause 0x1
	scratch_store_b32 off, v13, off offset:124
	scratch_store_b32 off, v14, off offset:128
	v_mul_f16_e32 v8, v14, v36
	s_waitcnt vmcnt(1)
	v_lshrrev_b32_e32 v20, 16, v19
	s_delay_alu instid0(VALU_DEP_2) | instskip(SKIP_2) | instid1(VALU_DEP_3)
	v_fma_f16 v8, v13, v7, -v8
	v_mul_f16_e32 v7, v14, v7
	s_waitcnt vmcnt(0)
	v_mul_f16_e32 v14, v20, v0
	s_delay_alu instid0(VALU_DEP_2) | instskip(SKIP_2) | instid1(VALU_DEP_2)
	v_fmac_f16_e32 v7, v13, v36
	v_lshrrev_b32_e32 v13, 16, v0
	v_or_b32_e32 v36, 0x3400, v58
	v_fma_f16 v14, v19, v13, -v14
	v_mul_f16_e32 v13, v20, v13
	s_delay_alu instid0(VALU_DEP_1) | instskip(SKIP_1) | instid1(VALU_DEP_2)
	v_fmac_f16_e32 v13, v19, v0
	v_pack_b32_f16 v0, v7, v8
	v_pack_b32_f16 v7, v13, v14
	global_load_b32 v13, v38, s[4:5]
	ds_store_2addr_stride64_b32 v58, v0, v7 offset0:20 offset1:22
	global_load_b32 v0, v[5:6], off
	global_load_b32 v7, v[11:12], off
	v_add_co_u32 v5, vcc_lo, v11, s8
	v_add_co_ci_u32_e32 v6, vcc_lo, s9, v12, vcc_lo
	v_lshrrev_b32_e32 v12, 16, v183
	s_waitcnt vmcnt(2)
	v_lshrrev_b32_e32 v14, 16, v13
	s_clause 0x1
	scratch_store_b32 off, v13, off offset:40
	scratch_store_b32 off, v39, off offset:72
	v_or_b32_e32 v39, 0x2200, v58
	scratch_store_b32 off, v14, off offset:44 ; 4-byte Folded Spill
	s_waitcnt vmcnt(1)
	v_lshrrev_b32_e32 v8, 16, v0
	v_mul_f16_e32 v11, v12, v0
	s_delay_alu instid0(VALU_DEP_1) | instskip(SKIP_3) | instid1(VALU_DEP_2)
	v_fma_f16 v11, v183, v8, -v11
	v_mul_f16_e32 v8, v12, v8
	s_waitcnt vmcnt(0)
	v_mul_f16_e32 v12, v14, v7
	v_fmac_f16_e64 v8, v183, v0
	v_lshrrev_b32_e32 v0, 16, v7
	s_delay_alu instid0(VALU_DEP_1) | instskip(SKIP_1) | instid1(VALU_DEP_1)
	v_fma_f16 v12, v13, v0, -v12
	v_mul_f16_e32 v0, v14, v0
	v_fmac_f16_e32 v0, v13, v7
	v_pack_b32_f16 v7, v8, v11
	s_delay_alu instid0(VALU_DEP_2)
	v_pack_b32_f16 v0, v0, v12
	global_load_b32 v12, v33, s[4:5]
	scratch_store_b32 off, v41, off offset:104 ; 4-byte Folded Spill
	v_or_b32_e32 v41, 0x2e00, v58
	ds_store_2addr_stride64_b32 v58, v0, v7 offset0:28 offset1:30
	global_load_b32 v0, v[15:16], off
	v_add_co_u32 v7, vcc_lo, v5, s8
	v_add_co_ci_u32_e32 v8, vcc_lo, s9, v6, vcc_lo
	global_load_b32 v5, v[5:6], off
	s_waitcnt vmcnt(2)
	v_lshrrev_b32_e32 v13, 16, v12
	s_clause 0x2
	scratch_store_b32 off, v12, off offset:112
	scratch_store_b32 off, v48, off offset:160
	;; [unrolled: 1-line block ×3, first 2 shown]
	s_waitcnt vmcnt(1)
	v_lshrrev_b32_e32 v6, 16, v0
	v_mul_f16_e32 v11, v13, v0
	s_delay_alu instid0(VALU_DEP_1)
	v_fma_f16 v11, v12, v6, -v11
	v_mul_f16_e32 v6, v13, v6
	global_load_b32 v13, v39, s[4:5]
	v_fmac_f16_e32 v6, v12, v0
	s_waitcnt vmcnt(1)
	v_lshrrev_b32_e32 v0, 16, v5
	s_waitcnt vmcnt(0)
	v_lshrrev_b32_e32 v14, 16, v13
	s_delay_alu instid0(VALU_DEP_1) | instskip(NEXT) | instid1(VALU_DEP_1)
	v_mul_f16_e32 v12, v14, v5
	v_fma_f16 v12, v13, v0, -v12
	v_mul_f16_e32 v0, v14, v0
	s_delay_alu instid0(VALU_DEP_1)
	v_fmac_f16_e32 v0, v13, v5
	v_pack_b32_f16 v5, v6, v11
	global_load_b32 v11, v40, s[4:5]
	v_pack_b32_f16 v0, v0, v12
	ds_store_2addr_stride64_b32 v58, v5, v0 offset0:32 offset1:34
	global_load_b32 v0, v[3:4], off
	global_load_b32 v5, v[7:8], off
	v_add_co_u32 v3, vcc_lo, v7, s8
	v_add_co_ci_u32_e32 v4, vcc_lo, s9, v8, vcc_lo
	v_lshrrev_b32_e32 v8, 16, v239
	s_waitcnt vmcnt(2)
	v_lshrrev_b32_e32 v12, 16, v11
	s_clause 0x2
	scratch_store_b32 off, v11, off offset:24
	scratch_store_b32 off, v14, off offset:36
	;; [unrolled: 1-line block ×3, first 2 shown]
	s_waitcnt vmcnt(1)
	v_lshrrev_b32_e32 v6, 16, v0
	v_mul_f16_e32 v7, v8, v0
	s_delay_alu instid0(VALU_DEP_1) | instskip(SKIP_3) | instid1(VALU_DEP_2)
	v_fma_f16 v7, v239, v6, -v7
	v_mul_f16_e32 v6, v8, v6
	s_waitcnt vmcnt(0)
	v_mul_f16_e32 v8, v12, v5
	v_fmac_f16_e64 v6, v239, v0
	v_lshrrev_b32_e32 v0, 16, v5
	s_delay_alu instid0(VALU_DEP_1) | instskip(SKIP_1) | instid1(VALU_DEP_1)
	v_fma_f16 v8, v11, v0, -v8
	v_mul_f16_e32 v0, v12, v0
	v_fmac_f16_e32 v0, v11, v5
	v_pack_b32_f16 v5, v6, v7
	s_delay_alu instid0(VALU_DEP_2)
	v_pack_b32_f16 v0, v0, v8
	global_load_b32 v8, v32, s[4:5]
	scratch_store_b32 off, v20, off offset:52 ; 4-byte Folded Spill
	ds_store_2addr_stride64_b32 v58, v0, v5 offset0:40 offset1:42
	global_load_b32 v0, v[17:18], off
	v_add_co_u32 v5, vcc_lo, v3, s8
	v_add_co_ci_u32_e32 v6, vcc_lo, s9, v4, vcc_lo
	global_load_b32 v3, v[3:4], off
	s_waitcnt vmcnt(2)
	v_lshrrev_b32_e32 v11, 16, v8
	s_clause 0x2
	scratch_store_b32 off, v8, off offset:96
	scratch_store_b32 off, v49, off offset:152
	;; [unrolled: 1-line block ×3, first 2 shown]
	s_waitcnt vmcnt(1)
	v_lshrrev_b32_e32 v4, 16, v0
	v_mul_f16_e32 v7, v11, v0
	s_delay_alu instid0(VALU_DEP_1)
	v_fma_f16 v7, v8, v4, -v7
	v_mul_f16_e32 v4, v11, v4
	global_load_b32 v11, v41, s[4:5]
	v_fmac_f16_e32 v4, v8, v0
	s_waitcnt vmcnt(1)
	v_lshrrev_b32_e32 v0, 16, v3
	s_waitcnt vmcnt(0)
	v_lshrrev_b32_e32 v12, 16, v11
	s_delay_alu instid0(VALU_DEP_1) | instskip(SKIP_3) | instid1(VALU_DEP_1)
	v_mul_f16_e32 v8, v12, v3
	scratch_store_b32 off, v12, off offset:20 ; 4-byte Folded Spill
	v_fma_f16 v8, v11, v0, -v8
	v_mul_f16_e32 v0, v12, v0
	v_fmac_f16_e32 v0, v11, v3
	v_pack_b32_f16 v3, v4, v7
	v_lshrrev_b32_e32 v4, 16, v2
	s_delay_alu instid0(VALU_DEP_3)
	v_pack_b32_f16 v0, v0, v8
	ds_store_2addr_stride64_b32 v58, v3, v0 offset0:44 offset1:46
	v_add_co_u32 v0, vcc_lo, v5, s8
	v_add_co_ci_u32_e32 v1, vcc_lo, s9, v6, vcc_lo
	global_load_b32 v3, v[5:6], off
	global_load_b32 v6, v29, s[4:5]
	v_cmp_gt_u32_e32 vcc_lo, 0x78, v241
	s_waitcnt vmcnt(0)
	v_lshrrev_b32_e32 v7, 16, v6
	scratch_store_b32 off, v6, off offset:168 ; 4-byte Folded Spill
	v_mul_f16_e32 v5, v7, v2
	scratch_store_b32 off, v7, off offset:172 ; 4-byte Folded Spill
	v_fma_f16 v5, v6, v4, -v5
	v_mul_f16_e32 v4, v7, v4
	global_load_b32 v7, v36, s[4:5]
	v_fmac_f16_e32 v4, v6, v2
	v_lshrrev_b32_e32 v2, 16, v3
	s_waitcnt vmcnt(0)
	v_lshrrev_b32_e32 v8, 16, v7
	s_clause 0x4
	scratch_store_b32 off, v7, off offset:8
	scratch_store_b32 off, v11, off offset:16
	;; [unrolled: 1-line block ×5, first 2 shown]
	v_mul_f16_e32 v6, v8, v3
	scratch_store_b32 off, v8, off offset:12 ; 4-byte Folded Spill
	v_fma_f16 v6, v7, v2, -v6
	v_mul_f16_e32 v2, v8, v2
	s_delay_alu instid0(VALU_DEP_1) | instskip(SKIP_1) | instid1(VALU_DEP_2)
	v_fmac_f16_e32 v2, v7, v3
	v_pack_b32_f16 v3, v4, v5
	v_pack_b32_f16 v2, v2, v6
	ds_store_2addr_stride64_b32 v58, v2, v3 offset0:52 offset1:54
	global_load_b32 v2, v[9:10], off
	global_load_b32 v0, v[0:1], off
	global_load_b32 v4, v30, s[4:5]
	s_load_b128 s[8:11], s[10:11], 0x0
	s_waitcnt vmcnt(2)
	v_lshrrev_b32_e32 v1, 16, v2
	s_waitcnt vmcnt(0)
	v_lshrrev_b32_e32 v5, 16, v4
	s_delay_alu instid0(VALU_DEP_1)
	v_mul_f16_e32 v3, v5, v2
	scratch_store_b32 off, v5, off offset:84 ; 4-byte Folded Spill
	v_fma_f16 v3, v4, v1, -v3
	v_mul_f16_e32 v1, v5, v1
	global_load_b32 v5, v35, s[4:5]
	v_fmac_f16_e32 v1, v4, v2
	v_lshrrev_b32_e32 v2, 16, v0
	s_waitcnt vmcnt(0)
	v_lshrrev_b32_e32 v6, 16, v5
	s_clause 0x2
	scratch_store_b32 off, v5, off
	scratch_store_b32 off, v4, off offset:80
	scratch_store_b32 off, v6, off offset:4
	v_mul_f16_e32 v4, v6, v0
	s_delay_alu instid0(VALU_DEP_1) | instskip(SKIP_1) | instid1(VALU_DEP_1)
	v_fma_f16 v4, v5, v2, -v4
	v_mul_f16_e32 v2, v6, v2
	v_fmac_f16_e32 v2, v5, v0
	v_pack_b32_f16 v0, v1, v3
	s_delay_alu instid0(VALU_DEP_2)
	v_pack_b32_f16 v1, v2, v4
	ds_store_2addr_stride64_b32 v58, v0, v1 offset0:56 offset1:58
	s_waitcnt lgkmcnt(0)
	s_waitcnt_vscnt null, 0x0
	s_barrier
	buffer_gl0_inv
	ds_load_2addr_stride64_b32 v[11:12], v58 offset0:12 offset1:14
	ds_load_2addr_stride64_b32 v[13:14], v58 offset0:24 offset1:26
	;; [unrolled: 1-line block ×8, first 2 shown]
	s_waitcnt lgkmcnt(7)
	v_lshrrev_b32_e32 v51, 16, v11
	s_waitcnt lgkmcnt(6)
	v_sub_f16_e32 v0, v11, v13
	s_waitcnt lgkmcnt(4)
	v_sub_f16_e32 v1, v15, v17
	v_lshrrev_b32_e32 v53, 16, v13
	v_lshrrev_b32_e32 v52, 16, v17
	;; [unrolled: 1-line block ×3, first 2 shown]
	s_waitcnt lgkmcnt(3)
	v_lshrrev_b32_e32 v56, 16, v4
	v_add_f16_e32 v22, v0, v1
	s_waitcnt lgkmcnt(2)
	v_sub_f16_e32 v0, v4, v10
	s_waitcnt lgkmcnt(0)
	v_sub_f16_e32 v1, v6, v8
	v_lshrrev_b32_e32 v60, 16, v10
	v_lshrrev_b32_e32 v57, 16, v8
	v_lshrrev_b32_e32 v61, 16, v6
	v_sub_f16_e32 v50, v4, v6
	v_add_f16_e32 v23, v0, v1
	v_sub_f16_e32 v0, v51, v53
	v_sub_f16_e32 v1, v54, v52
	;; [unrolled: 1-line block ×6, first 2 shown]
	v_add_f16_e32 v24, v0, v1
	v_sub_f16_e32 v0, v56, v60
	v_sub_f16_e32 v1, v61, v57
	;; [unrolled: 1-line block ×4, first 2 shown]
	s_delay_alu instid0(VALU_DEP_3) | instskip(SKIP_3) | instid1(VALU_DEP_1)
	v_add_f16_e32 v26, v0, v1
	ds_load_2addr_stride64_b32 v[1:2], v58 offset0:4 offset1:6
	v_add_f16_e32 v0, v10, v8
	s_waitcnt lgkmcnt(0)
	v_fma_f16 v25, -0.5, v0, v2
	v_lshrrev_b32_e32 v55, 16, v2
	v_add_f16_e32 v0, v60, v57
	v_add_f16_e32 v64, v2, v4
	s_delay_alu instid0(VALU_DEP_2) | instskip(SKIP_1) | instid1(VALU_DEP_3)
	v_fma_f16 v27, -0.5, v0, v55
	v_fmamk_f16 v0, v48, 0x3b9c, v25
	v_add_f16_e32 v65, v64, v10
	v_sub_f16_e32 v10, v10, v4
	v_add_f16_e32 v4, v4, v6
	v_fmamk_f16 v19, v50, 0xbb9c, v27
	v_fmac_f16_e32 v0, 0x38b4, v28
	v_add_f16_e32 v69, v65, v8
	v_add_f16_e32 v65, v55, v56
	v_fma_f16 v2, -0.5, v4, v2
	v_fmac_f16_e32 v19, 0xb8b4, v49
	v_fmac_f16_e32 v0, 0x34f2, v23
	v_sub_f16_e32 v8, v8, v6
	v_add_f16_e32 v71, v65, v60
	v_fmamk_f16 v4, v28, 0xbb9c, v2
	v_fmac_f16_e32 v19, 0x34f2, v26
	v_mul_f16_e32 v59, 0x3a79, v0
	v_mul_f16_e32 v0, 0xb8b4, v0
	v_fmac_f16_e32 v2, 0x3b9c, v28
	v_add_f16_e32 v8, v10, v8
	v_fmac_f16_e32 v4, 0x38b4, v48
	v_fmac_f16_e32 v59, 0x38b4, v19
	;; [unrolled: 1-line block ×3, first 2 shown]
	ds_load_2addr_stride64_b32 v[19:20], v58 offset1:2
	v_fmac_f16_e32 v2, 0xb8b4, v48
	v_fmac_f16_e32 v4, 0x34f2, v8
	;; [unrolled: 1-line block ×4, first 2 shown]
	s_delay_alu instid0(VALU_DEP_4) | instskip(NEXT) | instid1(VALU_DEP_3)
	v_fmac_f16_e32 v2, 0x34f2, v8
	v_fmac_f16_e32 v25, 0xb8b4, v28
	s_delay_alu instid0(VALU_DEP_3) | instskip(NEXT) | instid1(VALU_DEP_2)
	v_fmac_f16_e32 v27, 0x38b4, v49
	v_fmac_f16_e32 v25, 0x34f2, v23
	s_delay_alu instid0(VALU_DEP_2) | instskip(SKIP_2) | instid1(VALU_DEP_1)
	v_fmac_f16_e32 v27, 0x34f2, v26
	s_waitcnt lgkmcnt(0)
	v_add_f16_e32 v62, v19, v11
	v_add_f16_e32 v63, v62, v13
	;; [unrolled: 1-line block ×3, first 2 shown]
	s_delay_alu instid0(VALU_DEP_2) | instskip(SKIP_1) | instid1(VALU_DEP_3)
	v_add_f16_e32 v66, v63, v17
	v_lshrrev_b32_e32 v63, 16, v19
	v_fma_f16 v62, -0.5, v62, v19
	s_delay_alu instid0(VALU_DEP_3) | instskip(NEXT) | instid1(VALU_DEP_3)
	v_add_f16_e32 v65, v66, v15
	v_add_f16_e32 v64, v63, v51
	;; [unrolled: 1-line block ×4, first 2 shown]
	v_sub_f16_e32 v71, v13, v17
	v_sub_f16_e32 v13, v13, v11
	v_add_f16_e32 v68, v64, v53
	v_sub_f16_e32 v17, v17, v15
	v_add_f16_e32 v64, v53, v52
	v_add_f16_e32 v11, v11, v15
	v_fmamk_f16 v73, v70, 0x3b9c, v62
	v_add_f16_e32 v68, v68, v52
	v_add_f16_e32 v13, v13, v17
	v_sub_f16_e32 v17, v53, v51
	v_add_f16_e32 v51, v51, v54
	v_sub_f16_e32 v52, v52, v54
	v_add_f16_e32 v68, v68, v54
	v_add_f16_e32 v54, v56, v61
	v_sub_f16_e32 v53, v60, v56
	v_sub_f16_e32 v56, v57, v61
	v_add_f16_e32 v10, v17, v52
	v_fma_f16 v15, -0.5, v11, v19
	v_fmac_f16_e32 v55, -0.5, v54
	v_fma_f16 v64, -0.5, v64, v63
	v_add_f16_e32 v17, v53, v56
	v_fmac_f16_e32 v63, -0.5, v51
	v_fmamk_f16 v19, v67, 0xbb9c, v15
	v_fmamk_f16 v8, v49, 0x3b9c, v55
	v_fmac_f16_e32 v55, 0xbb9c, v49
	v_fmac_f16_e32 v15, 0x3b9c, v67
	v_fmamk_f16 v6, v71, 0x3b9c, v63
	v_fmac_f16_e32 v19, 0x38b4, v70
	v_fmac_f16_e32 v8, 0xb8b4, v50
	;; [unrolled: 1-line block ×10, first 2 shown]
	v_mul_f16_e32 v13, 0xb4f2, v2
	v_fmamk_f16 v74, v72, 0xbb9c, v64
	v_mul_f16_e32 v17, 0xb4f2, v55
	v_fmac_f16_e32 v6, 0xb8b4, v72
	v_fmac_f16_e32 v63, 0x34f2, v10
	;; [unrolled: 1-line block ×5, first 2 shown]
	v_mul_f16_e32 v2, 0xbb9c, v4
	v_fmac_f16_e32 v74, 0xb8b4, v71
	v_fmac_f16_e32 v6, 0x34f2, v10
	;; [unrolled: 1-line block ×3, first 2 shown]
	v_add_f16_e32 v10, v63, v17
	v_fmac_f16_e32 v2, 0x34f2, v8
	v_mul_f16_e32 v8, 0x3b9c, v8
	v_fmac_f16_e32 v74, 0x34f2, v24
	v_fmac_f16_e32 v62, 0xbb9c, v70
	;; [unrolled: 1-line block ×3, first 2 shown]
	v_add_f16_e32 v69, v69, v61
	v_fmac_f16_e32 v8, 0x34f2, v4
	v_add_f16_e32 v4, v15, v13
	v_add_f16_e32 v77, v74, v0
	v_sub_f16_e32 v0, v74, v0
	v_fmac_f16_e32 v62, 0xb8b4, v67
	v_fmac_f16_e32 v64, 0x38b4, v71
	v_pack_b32_f16 v11, v4, v10
	v_add_f16_e32 v4, v6, v2
	v_add_f16_e32 v10, v19, v8
	v_sub_f16_e32 v2, v6, v2
	v_sub_f16_e32 v6, v19, v8
	v_fmac_f16_e32 v62, 0x34f2, v22
	v_fmac_f16_e32 v64, 0x34f2, v24
	v_pack_b32_f16 v10, v10, v4
	v_sub_f16_e32 v4, v73, v59
	v_pack_b32_f16 v52, v6, v2
	v_mul_f16_e32 v6, 0xba79, v27
	v_sub_f16_e32 v2, v68, v69
	v_add_f16_e32 v75, v65, v66
	v_pack_b32_f16 v51, v4, v0
	v_mul_f16_e32 v4, 0xba79, v25
	v_sub_f16_e32 v0, v65, v66
	v_fmac_f16_e32 v6, 0xb8b4, v25
	v_add_f16_e32 v76, v68, v69
	v_sub_f16_e32 v8, v14, v12
	v_fmac_f16_e32 v4, 0x38b4, v27
	v_pack_b32_f16 v23, v0, v2
	v_add_f16_e32 v2, v64, v6
	v_pack_b32_f16 v75, v75, v76
	v_add_f16_e32 v76, v73, v59
	v_add_f16_e32 v0, v62, v4
	ds_load_2addr_stride64_b32 v[24:25], v58 offset0:8 offset1:10
	ds_load_2addr_stride64_b32 v[26:27], v58 offset0:20 offset1:22
	;; [unrolled: 1-line block ×5, first 2 shown]
	s_waitcnt lgkmcnt(0)
	s_barrier
	v_pack_b32_f16 v76, v76, v77
	v_pack_b32_f16 v22, v0, v2
	v_mul_u32_u24_e32 v0, 10, v241
	v_sub_f16_e32 v2, v62, v4
	v_sub_f16_e32 v4, v64, v6
	;; [unrolled: 1-line block ×3, first 2 shown]
	buffer_gl0_inv
	v_lshlrev_b32_e32 v114, 2, v0
	v_sub_f16_e32 v0, v15, v13
	ds_store_2addr_b64 v114, v[75:76], v[10:11] offset1:1
	ds_store_2addr_b64 v114, v[22:23], v[51:52] offset0:2 offset1:3
	v_pack_b32_f16 v10, v0, v6
	v_add_f16_e32 v0, v20, v12
	v_pack_b32_f16 v11, v2, v4
	v_lshrrev_b32_e32 v2, 16, v14
	v_add_f16_e32 v4, v14, v18
	v_lshrrev_b32_e32 v13, 16, v18
	v_add_f16_e32 v0, v0, v14
	ds_store_b64 v114, v[10:11] offset:32
	v_add_f16_e32 v11, v12, v16
	v_sub_f16_e32 v6, v12, v14
	v_sub_f16_e32 v17, v14, v18
	v_add_f16_e32 v0, v0, v18
	v_sub_f16_e32 v14, v16, v18
	v_sub_f16_e32 v10, v18, v16
	v_lshrrev_b32_e32 v15, 16, v12
	v_sub_f16_e32 v18, v12, v16
	v_add_f16_e32 v0, v0, v16
	v_lshrrev_b32_e32 v12, 16, v16
	v_fma_f16 v4, -0.5, v4, v20
	v_lshrrev_b32_e32 v19, 16, v20
	v_fmac_f16_e32 v20, -0.5, v11
	v_sub_f16_e32 v16, v2, v13
	v_sub_f16_e32 v23, v15, v12
	v_add_f16_e32 v8, v8, v10
	v_add_f16_e32 v10, v15, v12
	;; [unrolled: 1-line block ×3, first 2 shown]
	v_fmamk_f16 v22, v16, 0xbb9c, v20
	v_fmac_f16_e32 v20, 0x3b9c, v16
	v_sub_f16_e32 v11, v13, v12
	v_lshrrev_b32_e32 v51, 16, v48
	v_lshrrev_b32_e32 v52, 16, v53
	v_fmac_f16_e32 v22, 0x38b4, v23
	v_fmac_f16_e32 v20, 0xb8b4, v23
	v_lshrrev_b32_e32 v59, 16, v26
	v_lshrrev_b32_e32 v60, 16, v55
	v_add_f16_e32 v57, v51, v52
	v_fmac_f16_e32 v22, 0x34f2, v8
	v_fmac_f16_e32 v20, 0x34f2, v8
	v_add_f16_e32 v8, v2, v13
	v_add_f16_e32 v61, v59, v60
	v_sub_f16_e32 v63, v51, v52
	v_sub_f16_e32 v65, v59, v60
	;; [unrolled: 1-line block ×3, first 2 shown]
	v_fma_f16 v8, -0.5, v8, v19
	v_fmac_f16_e32 v19, -0.5, v10
	v_sub_f16_e32 v10, v2, v15
	v_sub_f16_e32 v68, v26, v55
	v_add_f16_e32 v6, v6, v14
	v_add_f16_e32 v14, v28, v2
	v_fmamk_f16 v50, v17, 0x3b9c, v19
	v_fmac_f16_e32 v19, 0xbb9c, v17
	v_add_f16_e32 v10, v10, v11
	v_sub_f16_e32 v11, v53, v55
	v_sub_f16_e32 v2, v15, v2
	v_fmac_f16_e32 v50, 0xb8b4, v18
	v_fmac_f16_e32 v19, 0x38b4, v18
	v_add_f16_e32 v14, v14, v13
	v_sub_f16_e32 v13, v12, v13
	s_delay_alu instid0(VALU_DEP_4) | instskip(NEXT) | instid1(VALU_DEP_4)
	v_fmac_f16_e32 v50, 0x34f2, v10
	v_fmac_f16_e32 v19, 0x34f2, v10
	v_sub_f16_e32 v10, v48, v26
	v_add_f16_e32 v28, v14, v12
	v_add_f16_e32 v2, v2, v13
	v_sub_f16_e32 v12, v26, v48
	v_sub_f16_e32 v13, v55, v53
	v_add_f16_e32 v10, v10, v11
	v_lshrrev_b32_e32 v11, 16, v24
	v_sub_f16_e32 v14, v60, v52
	s_delay_alu instid0(VALU_DEP_2) | instskip(SKIP_3) | instid1(VALU_DEP_1)
	v_fma_f16 v57, -0.5, v57, v11
	v_add_f16_e32 v62, v11, v59
	v_fmac_f16_e32 v11, -0.5, v61
	v_add_f16_e32 v61, v26, v55
	v_fma_f16 v61, -0.5, v61, v24
	s_delay_alu instid0(VALU_DEP_1) | instskip(SKIP_1) | instid1(VALU_DEP_2)
	v_fmamk_f16 v64, v63, 0xbb9c, v61
	v_fmac_f16_e32 v61, 0x3b9c, v63
	v_fmac_f16_e32 v64, 0x38b4, v65
	s_delay_alu instid0(VALU_DEP_2) | instskip(NEXT) | instid1(VALU_DEP_2)
	v_fmac_f16_e32 v61, 0xb8b4, v65
	v_fmac_f16_e32 v64, 0x34f2, v10
	s_delay_alu instid0(VALU_DEP_2) | instskip(SKIP_1) | instid1(VALU_DEP_2)
	v_fmac_f16_e32 v61, 0x34f2, v10
	v_sub_f16_e32 v10, v51, v59
	v_mul_f16_e32 v69, 0xb4f2, v61
	s_delay_alu instid0(VALU_DEP_2) | instskip(SKIP_1) | instid1(VALU_DEP_1)
	v_add_f16_e32 v10, v10, v66
	v_sub_f16_e32 v66, v48, v53
	v_fmamk_f16 v67, v66, 0x3b9c, v11
	v_fmac_f16_e32 v11, 0xbb9c, v66
	s_delay_alu instid0(VALU_DEP_2) | instskip(NEXT) | instid1(VALU_DEP_2)
	v_fmac_f16_e32 v67, 0xb8b4, v68
	v_fmac_f16_e32 v11, 0x38b4, v68
	s_delay_alu instid0(VALU_DEP_2) | instskip(NEXT) | instid1(VALU_DEP_2)
	v_fmac_f16_e32 v67, 0x34f2, v10
	v_fmac_f16_e32 v11, 0x34f2, v10
	s_delay_alu instid0(VALU_DEP_1) | instskip(SKIP_1) | instid1(VALU_DEP_2)
	v_mul_f16_e32 v70, 0xb4f2, v11
	v_fmac_f16_e32 v69, 0x3b9c, v11
	v_fmac_f16_e32 v70, 0xbb9c, v61
	v_mul_f16_e32 v61, 0x3b9c, v67
	s_delay_alu instid0(VALU_DEP_3) | instskip(NEXT) | instid1(VALU_DEP_3)
	v_add_f16_e32 v10, v20, v69
	v_add_f16_e32 v11, v19, v70
	s_delay_alu instid0(VALU_DEP_3) | instskip(SKIP_1) | instid1(VALU_DEP_3)
	v_fmac_f16_e32 v61, 0x34f2, v64
	v_mul_f16_e32 v64, 0xbb9c, v64
	v_pack_b32_f16 v11, v10, v11
	s_delay_alu instid0(VALU_DEP_3) | instskip(NEXT) | instid1(VALU_DEP_3)
	v_add_f16_e32 v10, v22, v61
	v_fmac_f16_e32 v64, 0x34f2, v67
	v_sub_f16_e32 v22, v22, v61
	s_delay_alu instid0(VALU_DEP_2) | instskip(NEXT) | instid1(VALU_DEP_1)
	v_add_f16_e32 v67, v50, v64
	v_pack_b32_f16 v10, v10, v67
	v_add_f16_e32 v67, v12, v13
	v_add_f16_e32 v12, v62, v51
	v_sub_f16_e32 v13, v59, v51
	s_delay_alu instid0(VALU_DEP_2) | instskip(NEXT) | instid1(VALU_DEP_2)
	v_add_f16_e32 v12, v12, v52
	v_add_f16_e32 v51, v13, v14
	v_fmamk_f16 v13, v68, 0xbb9c, v57
	v_fmac_f16_e32 v57, 0x3b9c, v68
	s_delay_alu instid0(VALU_DEP_4) | instskip(SKIP_1) | instid1(VALU_DEP_4)
	v_add_f16_e32 v52, v12, v60
	v_add_f16_e32 v12, v48, v53
	v_fmac_f16_e32 v13, 0xb8b4, v66
	v_fmamk_f16 v60, v23, 0x3b9c, v4
	v_fmac_f16_e32 v4, 0xbb9c, v23
	v_fmac_f16_e32 v57, 0x38b4, v66
	v_fma_f16 v59, -0.5, v12, v24
	v_fmac_f16_e32 v13, 0x34f2, v51
	v_fmac_f16_e32 v60, 0x38b4, v16
	;; [unrolled: 1-line block ×4, first 2 shown]
	v_fmamk_f16 v12, v65, 0x3b9c, v59
	v_fmac_f16_e32 v59, 0xbb9c, v65
	v_fmac_f16_e32 v60, 0x34f2, v6
	;; [unrolled: 1-line block ×3, first 2 shown]
	v_mul_f16_e32 v6, 0xba79, v57
	v_fmac_f16_e32 v12, 0x38b4, v63
	v_fmac_f16_e32 v59, 0xb8b4, v63
	v_lshrrev_b32_e32 v51, 16, v1
	v_sub_f16_e32 v23, v56, v54
	s_delay_alu instid0(VALU_DEP_4) | instskip(NEXT) | instid1(VALU_DEP_4)
	v_fmac_f16_e32 v12, 0x34f2, v67
	v_fmac_f16_e32 v59, 0x34f2, v67
	s_delay_alu instid0(VALU_DEP_2)
	v_mul_f16_e32 v14, 0x3a79, v12
	v_mul_f16_e32 v15, 0xb8b4, v12
	v_add_f16_e32 v12, v24, v26
	v_fmamk_f16 v24, v18, 0xbb9c, v8
	v_fmac_f16_e32 v8, 0x3b9c, v18
	v_fmac_f16_e32 v14, 0x38b4, v13
	;; [unrolled: 1-line block ×3, first 2 shown]
	v_add_f16_e32 v12, v12, v48
	v_fmac_f16_e32 v24, 0xb8b4, v17
	v_fmac_f16_e32 v8, 0x38b4, v17
	v_sub_f16_e32 v17, v28, v52
	v_fmac_f16_e32 v6, 0xb8b4, v59
	v_add_f16_e32 v12, v12, v53
	v_fmac_f16_e32 v24, 0x34f2, v2
	v_fmac_f16_e32 v8, 0x34f2, v2
	v_mul_f16_e32 v2, 0xba79, v59
	v_add_f16_e32 v48, v28, v52
	v_add_f16_e32 v26, v12, v55
	;; [unrolled: 1-line block ×4, first 2 shown]
	v_sub_f16_e32 v14, v60, v14
	v_sub_f16_e32 v15, v24, v15
	;; [unrolled: 1-line block ×3, first 2 shown]
	v_fmac_f16_e32 v2, 0x38b4, v57
	v_pack_b32_f16 v13, v12, v13
	v_add_f16_e32 v12, v0, v26
	v_pack_b32_f16 v14, v14, v15
	v_pack_b32_f16 v15, v22, v24
	v_sub_f16_e32 v0, v0, v26
	v_or_b32_e32 v22, 0x80, v241
	v_add_f16_e32 v16, v4, v2
	v_add_f16_e32 v18, v8, v6
	v_pack_b32_f16 v12, v12, v48
	v_pack_b32_f16 v17, v0, v17
	v_mul_u32_u24_e32 v0, 10, v22
	v_sub_f16_e32 v2, v4, v2
	v_sub_f16_e32 v4, v8, v6
	;; [unrolled: 1-line block ×3, first 2 shown]
	v_pack_b32_f16 v16, v16, v18
	v_lshlrev_b32_e32 v115, 2, v0
	v_sub_f16_e32 v0, v20, v69
	ds_store_2addr_b64 v115, v[12:13], v[10:11] offset1:1
	ds_store_2addr_b64 v115, v[16:17], v[14:15] offset0:2 offset1:3
	v_pack_b32_f16 v10, v0, v6
	v_add_f16_e32 v0, v1, v3
	v_pack_b32_f16 v11, v2, v4
	v_lshrrev_b32_e32 v4, 16, v9
	v_add_f16_e32 v2, v9, v7
	v_sub_f16_e32 v6, v3, v9
	v_add_f16_e32 v0, v0, v9
	ds_store_b64 v115, v[10:11] offset:32
	v_sub_f16_e32 v8, v9, v3
	v_sub_f16_e32 v9, v9, v7
	v_lshrrev_b32_e32 v10, 16, v7
	v_add_f16_e32 v0, v0, v7
	v_sub_f16_e32 v11, v5, v7
	v_sub_f16_e32 v7, v7, v5
	v_add_f16_e32 v13, v3, v5
	v_lshrrev_b32_e32 v12, 16, v3
	v_sub_f16_e32 v14, v3, v5
	v_add_f16_e32 v0, v0, v5
	v_lshrrev_b32_e32 v5, 16, v5
	v_fma_f16 v50, -0.5, v2, v1
	v_fmac_f16_e32 v1, -0.5, v13
	v_add_f16_e32 v2, v8, v7
	v_sub_f16_e32 v8, v4, v10
	v_sub_f16_e32 v13, v12, v5
	v_add_f16_e32 v3, v25, v27
	v_add_f16_e32 v53, v51, v12
	;; [unrolled: 1-line block ×3, first 2 shown]
	v_fmamk_f16 v7, v8, 0xbb9c, v1
	v_fmac_f16_e32 v1, 0x3b9c, v8
	v_add_f16_e32 v3, v3, v49
	v_sub_f16_e32 v19, v49, v54
	v_lshrrev_b32_e32 v20, 16, v54
	v_fmac_f16_e32 v7, 0x38b4, v13
	v_fmac_f16_e32 v1, 0xb8b4, v13
	v_add_f16_e32 v3, v3, v54
	v_sub_f16_e32 v24, v54, v56
	v_lshrrev_b32_e32 v15, 16, v49
	v_fmac_f16_e32 v7, 0x34f2, v2
	v_fmac_f16_e32 v1, 0x34f2, v2
	v_add_f16_e32 v2, v4, v10
	v_add_f16_e32 v48, v3, v56
	v_sub_f16_e32 v3, v10, v5
	v_sub_f16_e32 v17, v27, v49
	v_sub_f16_e32 v18, v49, v27
	v_fma_f16 v52, -0.5, v2, v51
	v_add_f16_e32 v2, v12, v5
	v_lshrrev_b32_e32 v26, 16, v27
	v_lshrrev_b32_e32 v49, 16, v56
	v_add_f16_e32 v28, v27, v56
	v_add_f16_e32 v11, v6, v11
	v_fmac_f16_e32 v51, -0.5, v2
	v_sub_f16_e32 v2, v4, v12
	v_add_f16_e32 v6, v53, v4
	v_fma_f16 v16, -0.5, v16, v25
	v_sub_f16_e32 v55, v20, v49
	v_fmamk_f16 v54, v9, 0x3b9c, v51
	v_fmac_f16_e32 v51, 0xbb9c, v9
	v_add_f16_e32 v2, v2, v3
	v_add_f16_e32 v3, v18, v24
	;; [unrolled: 1-line block ×3, first 2 shown]
	v_fmac_f16_e32 v54, 0xb8b4, v14
	v_fmac_f16_e32 v51, 0x38b4, v14
	v_add_f16_e32 v24, v26, v49
	v_sub_f16_e32 v4, v12, v4
	v_add_f16_e32 v6, v6, v10
	v_fmac_f16_e32 v54, 0x34f2, v2
	v_fmac_f16_e32 v51, 0x34f2, v2
	v_lshrrev_b32_e32 v2, 16, v25
	v_fmac_f16_e32 v25, -0.5, v28
	v_sub_f16_e32 v10, v5, v10
	v_sub_f16_e32 v27, v27, v56
	;; [unrolled: 1-line block ×3, first 2 shown]
	v_fma_f16 v18, -0.5, v18, v2
	v_add_f16_e32 v28, v2, v26
	v_fmac_f16_e32 v2, -0.5, v24
	v_sub_f16_e32 v24, v15, v26
	v_add_f16_e32 v10, v4, v10
	v_add_f16_e32 v12, v6, v5
	;; [unrolled: 1-line block ×3, first 2 shown]
	v_sub_f16_e32 v5, v26, v15
	v_add_f16_e32 v24, v24, v55
	v_fmamk_f16 v55, v19, 0x3b9c, v2
	v_fmac_f16_e32 v2, 0xbb9c, v19
	v_add_f16_e32 v4, v4, v20
	v_sub_f16_e32 v6, v49, v20
	v_add_f16_e32 v17, v17, v23
	v_fmac_f16_e32 v55, 0xb8b4, v27
	v_fmac_f16_e32 v2, 0x38b4, v27
	v_fmamk_f16 v26, v13, 0x3b9c, v50
	v_fmamk_f16 v28, v14, 0xbb9c, v52
	v_fmac_f16_e32 v50, 0xbb9c, v13
	v_fmac_f16_e32 v55, 0x34f2, v24
	;; [unrolled: 1-line block ×3, first 2 shown]
	v_sub_f16_e32 v24, v15, v20
	v_add_f16_e32 v20, v4, v49
	v_fmamk_f16 v4, v57, 0x3b9c, v16
	v_add_f16_e32 v15, v5, v6
	v_fmamk_f16 v5, v27, 0xbb9c, v18
	v_fmamk_f16 v56, v24, 0xbb9c, v25
	v_fmac_f16_e32 v25, 0x3b9c, v24
	v_fmac_f16_e32 v4, 0x38b4, v24
	;; [unrolled: 1-line block ×11, first 2 shown]
	v_mul_f16_e32 v6, 0x3a79, v4
	v_mul_f16_e32 v23, 0xb8b4, v4
	;; [unrolled: 1-line block ×3, first 2 shown]
	v_fmac_f16_e32 v56, 0x38b4, v57
	v_fmac_f16_e32 v26, 0x34f2, v11
	;; [unrolled: 1-line block ×9, first 2 shown]
	v_mul_f16_e32 v25, 0xb4f2, v25
	v_fmac_f16_e32 v56, 0x34f2, v3
	v_mul_f16_e32 v60, 0x3b9c, v55
	v_add_f16_e32 v4, v26, v6
	v_add_f16_e32 v5, v28, v23
	v_fmac_f16_e32 v50, 0xb8b4, v8
	v_fmac_f16_e32 v52, 0x38b4, v9
	;; [unrolled: 1-line block ×6, first 2 shown]
	v_mul_f16_e32 v56, 0xbb9c, v56
	v_pack_b32_f16 v5, v4, v5
	v_add_f16_e32 v4, v0, v48
	v_add_f16_e32 v49, v12, v20
	v_fmac_f16_e32 v50, 0x34f2, v11
	v_fmac_f16_e32 v52, 0x34f2, v10
	v_mul_f16_e32 v10, 0xba79, v16
	v_mul_f16_e32 v11, 0xba79, v18
	v_fmac_f16_e32 v56, 0x34f2, v55
	v_add_f16_e32 v2, v1, v25
	v_add_f16_e32 v3, v51, v59
	v_pack_b32_f16 v4, v4, v49
	v_sub_f16_e32 v0, v0, v48
	v_sub_f16_e32 v9, v12, v20
	v_or_b32_e32 v49, 0x100, v241
	v_fmac_f16_e32 v10, 0x38b4, v18
	v_fmac_f16_e32 v11, 0xb8b4, v16
	v_pack_b32_f16 v3, v2, v3
	v_add_f16_e32 v2, v7, v60
	v_add_f16_e32 v55, v54, v56
	v_pack_b32_f16 v9, v0, v9
	v_mul_u32_u24_e32 v0, 10, v49
	v_sub_f16_e32 v6, v26, v6
	v_sub_f16_e32 v7, v7, v60
	;; [unrolled: 1-line block ×4, first 2 shown]
	v_add_f16_e32 v8, v50, v10
	v_add_f16_e32 v12, v52, v11
	v_pack_b32_f16 v2, v2, v55
	v_lshlrev_b32_e32 v116, 2, v0
	v_pack_b32_f16 v6, v6, v23
	v_pack_b32_f16 v7, v7, v26
	;; [unrolled: 1-line block ×3, first 2 shown]
	ds_store_2addr_b64 v116, v[4:5], v[2:3] offset1:1
	ds_store_2addr_b64 v116, v[8:9], v[6:7] offset0:2 offset1:3
	v_sub_f16_e32 v0, v1, v25
	v_sub_f16_e32 v1, v50, v10
	v_sub_f16_e32 v2, v52, v11
	v_sub_f16_e32 v3, v51, v59
	v_or_b32_e32 v48, 0x200, v241
	s_delay_alu instid0(VALU_DEP_3) | instskip(NEXT) | instid1(VALU_DEP_3)
	v_pack_b32_f16 v1, v1, v2
	v_pack_b32_f16 v0, v0, v3
	ds_store_b64 v116, v[0:1] offset:32
	v_mul_u32_u24_e32 v0, 0x199a, v48
	s_waitcnt lgkmcnt(0)
	s_barrier
	buffer_gl0_inv
	v_lshrrev_b32_e32 v50, 16, v0
	s_delay_alu instid0(VALU_DEP_1) | instskip(NEXT) | instid1(VALU_DEP_1)
	v_mul_lo_u16 v0, v50, 10
	v_sub_nc_u16 v51, v48, v0
	s_delay_alu instid0(VALU_DEP_1) | instskip(NEXT) | instid1(VALU_DEP_1)
	v_mul_lo_u16 v0, v51, 20
	v_and_b32_e32 v0, 0xffff, v0
	s_delay_alu instid0(VALU_DEP_1) | instskip(NEXT) | instid1(VALU_DEP_1)
	v_add_co_u32 v0, s4, s6, v0
	v_add_co_ci_u32_e64 v1, null, s7, 0, s4
	s_clause 0x1
	global_load_b32 v103, v[0:1], off offset:16
	global_load_b128 v[168:171], v[0:1], off
	ds_load_2addr_stride64_b32 v[23:24], v58 offset0:36 offset1:38
	ds_load_2addr_stride64_b32 v[25:26], v58 offset0:56 offset1:58
	;; [unrolled: 1-line block ×6, first 2 shown]
	s_waitcnt lgkmcnt(5)
	v_lshrrev_b32_e32 v0, 16, v24
	s_waitcnt lgkmcnt(1)
	v_lshrrev_b32_e32 v17, 16, v11
	s_waitcnt vmcnt(1)
	v_lshrrev_b32_e32 v3, 16, v103
	s_waitcnt vmcnt(0)
	v_lshrrev_b32_e32 v2, 16, v170
	v_lshrrev_b32_e32 v4, 16, v168
	s_delay_alu instid0(VALU_DEP_3) | instskip(NEXT) | instid1(VALU_DEP_3)
	v_mul_f16_e32 v53, v26, v3
	v_mul_f16_e32 v1, v24, v2
	s_delay_alu instid0(VALU_DEP_3) | instskip(NEXT) | instid1(VALU_DEP_2)
	v_mul_f16_e32 v52, v28, v4
	v_fmac_f16_e64 v1, v0, v170
	v_mul_f16_e32 v0, v0, v2
	v_lshrrev_b32_e32 v2, 16, v26
	s_delay_alu instid0(VALU_DEP_1) | instskip(SKIP_2) | instid1(VALU_DEP_2)
	v_fmac_f16_e32 v53, v2, v103
	v_mul_f16_e32 v2, v2, v3
	v_lshrrev_b32_e32 v3, 16, v28
	v_fma_f16 v54, v26, v103, -v2
	s_delay_alu instid0(VALU_DEP_2) | instskip(SKIP_2) | instid1(VALU_DEP_3)
	v_fmac_f16_e64 v52, v3, v168
	v_mul_f16_e32 v3, v3, v4
	v_fma_f16 v4, v24, v170, -v0
	v_add_f16_e32 v55, v52, v1
	s_delay_alu instid0(VALU_DEP_3) | instskip(NEXT) | instid1(VALU_DEP_3)
	v_fma_f16 v26, v28, v168, -v3
	v_add_f16_e32 v2, v4, v54
	v_lshrrev_b32_e32 v3, 16, v171
	s_waitcnt lgkmcnt(0)
	v_lshrrev_b32_e32 v28, 16, v12
	v_add_f16_e32 v0, v26, v4
	v_fmac_f16_e32 v26, -0.5, v2
	v_add_f16_e32 v2, v1, v53
	v_sub_f16_e32 v1, v1, v53
	v_mul_f16_e32 v60, v10, v3
	v_add_f16_e32 v0, v0, v54
	s_delay_alu instid0(VALU_DEP_4) | instskip(SKIP_4) | instid1(VALU_DEP_4)
	v_fmac_f16_e32 v52, -0.5, v2
	v_lshrrev_b32_e32 v2, 16, v169
	v_fmamk_f16 v56, v1, 0x3aee, v26
	v_fmac_f16_e32 v26, 0xbaee, v1
	v_lshrrev_b32_e32 v1, 16, v8
	v_mul_f16_e32 v59, v8, v2
	s_delay_alu instid0(VALU_DEP_1) | instskip(SKIP_2) | instid1(VALU_DEP_2)
	v_fmac_f16_e64 v59, v1, v169
	v_mul_f16_e32 v1, v1, v2
	v_lshrrev_b32_e32 v2, 16, v10
	v_fma_f16 v61, v8, v169, -v1
	s_delay_alu instid0(VALU_DEP_2) | instskip(SKIP_2) | instid1(VALU_DEP_4)
	v_fmac_f16_e64 v60, v2, v171
	v_mul_f16_e32 v2, v2, v3
	v_mul_f16_e32 v3, -0.5, v26
	v_add_f16_e32 v64, v12, v61
	s_delay_alu instid0(VALU_DEP_3) | instskip(NEXT) | instid1(VALU_DEP_1)
	v_fma_f16 v62, v10, v171, -v2
	v_add_f16_e32 v1, v61, v62
	s_delay_alu instid0(VALU_DEP_1) | instskip(SKIP_2) | instid1(VALU_DEP_2)
	v_fmac_f16_e32 v12, -0.5, v1
	v_sub_f16_e32 v1, v4, v54
	v_lshrrev_b32_e32 v4, 16, v13
	v_fmamk_f16 v63, v1, 0xbaee, v52
	v_fmac_f16_e32 v52, 0x3aee, v1
	v_sub_f16_e32 v1, v59, v60
	s_delay_alu instid0(VALU_DEP_2) | instskip(NEXT) | instid1(VALU_DEP_2)
	v_fmac_f16_e32 v3, 0x3aee, v52
	v_fmamk_f16 v57, v1, 0x3aee, v12
	v_fmac_f16_e32 v12, 0xbaee, v1
	v_mul_lo_u16 v1, 0x67, v241
	s_delay_alu instid0(VALU_DEP_2) | instskip(NEXT) | instid1(VALU_DEP_2)
	v_add_f16_e32 v65, v12, v3
	v_lshrrev_b16 v1, 10, v1
	v_sub_f16_e32 v66, v12, v3
	s_delay_alu instid0(VALU_DEP_2) | instskip(SKIP_1) | instid1(VALU_DEP_2)
	v_mul_lo_u16 v2, v1, 10
	v_and_b32_e32 v1, 0xffff, v1
	v_sub_nc_u16 v2, v241, v2
	s_delay_alu instid0(VALU_DEP_2) | instskip(NEXT) | instid1(VALU_DEP_2)
	v_mul_u32_u24_e32 v1, 60, v1
	v_and_b32_e32 v2, 0xff, v2
	s_delay_alu instid0(VALU_DEP_1)
	v_mad_u64_u32 v[5:6], null, v2, 20, s[6:7]
	s_clause 0x1
	global_load_b32 v130, v[5:6], off offset:16
	global_load_b128 v[5:8], v[5:6], off
	v_add_lshl_u32 v123, v1, v2, 2
	s_waitcnt vmcnt(0)
	v_lshrrev_b32_e32 v14, 16, v5
	v_lshrrev_b32_e32 v12, 16, v7
	v_lshrrev_b32_e32 v72, 16, v8
	s_delay_alu instid0(VALU_DEP_3) | instskip(SKIP_1) | instid1(VALU_DEP_4)
	v_mul_f16_e32 v3, v13, v14
	v_mul_f16_e32 v10, v4, v14
	;; [unrolled: 1-line block ×3, first 2 shown]
	s_delay_alu instid0(VALU_DEP_3) | instskip(SKIP_1) | instid1(VALU_DEP_4)
	v_fmac_f16_e32 v3, v4, v5
	v_lshrrev_b32_e32 v4, 16, v9
	v_fma_f16 v79, v13, v5, -v10
	s_delay_alu instid0(VALU_DEP_2) | instskip(SKIP_4) | instid1(VALU_DEP_1)
	v_mul_f16_e32 v10, v4, v12
	ds_load_2addr_stride64_b32 v[12:13], v58 offset0:20 offset1:22
	v_fmac_f16_e32 v16, v4, v7
	v_fma_f16 v15, v9, v7, -v10
	v_lshrrev_b32_e32 v10, 16, v130
	v_mul_f16_e32 v9, v17, v10
	v_mul_f16_e32 v19, v11, v10
	s_delay_alu instid0(VALU_DEP_2) | instskip(SKIP_2) | instid1(VALU_DEP_4)
	v_fma_f16 v18, v11, v130, -v9
	v_mul_lo_u16 v9, 0xcd, v22
	v_lshrrev_b32_e32 v11, 16, v6
	v_fmac_f16_e64 v19, v17, v130
	s_waitcnt lgkmcnt(0)
	v_lshrrev_b32_e32 v10, 16, v12
	v_lshrrev_b16 v80, 11, v9
	v_mul_f16_e32 v20, v12, v11
	v_lshrrev_b32_e32 v67, 16, v13
	v_sub_f16_e32 v101, v15, v18
	v_sub_f16_e32 v104, v16, v19
	v_mul_lo_u16 v9, v80, 10
	v_fmac_f16_e32 v20, v10, v6
	v_mul_f16_e32 v10, v10, v11
	s_delay_alu instid0(VALU_DEP_3) | instskip(NEXT) | instid1(VALU_DEP_2)
	v_sub_nc_u16 v9, v22, v9
	v_fma_f16 v24, v12, v6, -v10
	s_delay_alu instid0(VALU_DEP_2) | instskip(NEXT) | instid1(VALU_DEP_1)
	v_and_b32_e32 v81, 0xff, v9
	v_mad_u64_u32 v[9:10], null, v81, 20, s[6:7]
	s_clause 0x1
	global_load_b32 v118, v[9:10], off offset:16
	global_load_b128 v[9:12], v[9:10], off
	s_waitcnt vmcnt(0)
	v_lshrrev_b32_e32 v68, 16, v10
	v_lshrrev_b32_e32 v71, 16, v12
	;; [unrolled: 1-line block ×3, first 2 shown]
	s_delay_alu instid0(VALU_DEP_3) | instskip(SKIP_1) | instid1(VALU_DEP_2)
	v_mul_f16_e32 v14, v67, v68
	v_mul_f16_e32 v83, v13, v68
	v_fma_f16 v82, v13, v10, -v14
	ds_load_2addr_stride64_b32 v[13:14], v58 offset0:40 offset1:42
	v_fmac_f16_e32 v83, v67, v10
	s_waitcnt lgkmcnt(0)
	v_lshrrev_b32_e32 v68, 16, v13
	v_mul_f16_e32 v74, v13, v72
	v_mul_f16_e32 v85, v14, v71
	s_delay_alu instid0(VALU_DEP_3) | instskip(NEXT) | instid1(VALU_DEP_3)
	v_mul_f16_e32 v69, v68, v72
	v_fmac_f16_e32 v74, v68, v8
	ds_load_2addr_stride64_b32 v[67:68], v58 offset0:32 offset1:34
	v_lshrrev_b32_e32 v72, 16, v118
	v_fma_f16 v73, v13, v8, -v69
	v_lshrrev_b32_e32 v69, 16, v14
	v_sub_f16_e32 v97, v20, v74
	s_delay_alu instid0(VALU_DEP_3) | instskip(NEXT) | instid1(VALU_DEP_3)
	v_sub_f16_e32 v100, v24, v73
	v_mul_f16_e32 v70, v69, v71
	v_fmac_f16_e32 v85, v69, v12
	v_lshrrev_b32_e32 v69, 16, v11
	s_delay_alu instid0(VALU_DEP_3)
	v_fma_f16 v84, v14, v12, -v70
	ds_load_2addr_stride64_b32 v[13:14], v58 offset1:2
	v_add_f16_e32 v4, v82, v84
	s_waitcnt lgkmcnt(1)
	v_mul_f16_e32 v17, v67, v69
	s_waitcnt lgkmcnt(0)
	v_lshrrev_b32_e32 v86, 16, v14
	v_add_f16_e32 v87, v14, v82
	v_fmac_f16_e32 v14, -0.5, v4
	v_sub_f16_e32 v4, v83, v85
	v_lshrrev_b32_e32 v96, 16, v13
	s_delay_alu instid0(VALU_DEP_2) | instskip(SKIP_2) | instid1(VALU_DEP_1)
	v_fmamk_f16 v88, v4, 0x3aee, v14
	v_fmac_f16_e32 v14, 0xbaee, v4
	v_lshrrev_b32_e32 v4, 16, v67
	v_fmac_f16_e32 v17, v4, v11
	v_mul_f16_e32 v4, v4, v69
	ds_load_2addr_stride64_b32 v[69:70], v58 offset0:52 offset1:54
	v_fma_f16 v4, v67, v11, -v4
	s_waitcnt lgkmcnt(0)
	v_lshrrev_b32_e32 v71, 16, v69
	v_mul_f16_e32 v89, v69, v72
	s_delay_alu instid0(VALU_DEP_2) | instskip(NEXT) | instid1(VALU_DEP_2)
	v_mul_f16_e32 v75, v71, v72
	v_fmac_f16_e32 v89, v71, v118
	ds_load_2addr_stride64_b32 v[71:72], v58 offset0:12 offset1:14
	v_fma_f16 v67, v69, v118, -v75
	s_waitcnt lgkmcnt(0)
	v_lshrrev_b32_e32 v76, 16, v71
	v_mul_f16_e32 v90, v71, v77
	s_delay_alu instid0(VALU_DEP_1) | instskip(SKIP_1) | instid1(VALU_DEP_2)
	v_fmac_f16_e32 v90, v76, v9
	v_mul_f16_e32 v76, v76, v77
	v_add_f16_e32 v93, v90, v17
	s_delay_alu instid0(VALU_DEP_2) | instskip(SKIP_1) | instid1(VALU_DEP_2)
	v_fma_f16 v69, v71, v9, -v76
	v_add_f16_e32 v71, v4, v67
	v_add_f16_e32 v91, v69, v4
	s_delay_alu instid0(VALU_DEP_2) | instskip(SKIP_2) | instid1(VALU_DEP_4)
	v_fmac_f16_e32 v69, -0.5, v71
	v_sub_f16_e32 v71, v17, v89
	v_sub_f16_e32 v4, v4, v67
	v_add_f16_e32 v67, v91, v67
	s_delay_alu instid0(VALU_DEP_3) | instskip(SKIP_3) | instid1(VALU_DEP_2)
	v_fmamk_f16 v92, v71, 0x3aee, v69
	v_fmac_f16_e32 v69, 0xbaee, v71
	v_add_f16_e32 v71, v17, v89
	v_add_f16_e32 v17, v24, v73
	v_fmac_f16_e32 v90, -0.5, v71
	s_delay_alu instid0(VALU_DEP_2)
	v_fma_f16 v94, -0.5, v17, v13
	v_add_f16_e32 v13, v13, v24
	v_add_f16_e32 v17, v20, v74
	v_or_b32_e32 v24, 0x180, v241
	v_fmamk_f16 v71, v4, 0xbaee, v90
	v_fmac_f16_e32 v90, 0x3aee, v4
	v_mul_f16_e32 v4, -0.5, v69
	v_add_f16_e32 v99, v13, v73
	v_add_f16_e32 v13, v16, v19
	s_delay_alu instid0(VALU_DEP_3) | instskip(NEXT) | instid1(VALU_DEP_1)
	v_fmac_f16_e32 v4, 0x3aee, v90
	v_add_f16_e32 v95, v14, v4
	v_sub_f16_e32 v4, v14, v4
	v_add_f16_e32 v14, v96, v20
	v_fmac_f16_e32 v96, -0.5, v17
	v_add_f16_e32 v17, v15, v18
	s_delay_alu instid0(VALU_DEP_3)
	v_add_f16_e32 v98, v14, v74
	v_add_f16_e32 v14, v3, v16
	v_fmac_f16_e32 v3, -0.5, v13
	v_add_f16_e32 v13, v79, v15
	v_fmac_f16_e32 v79, -0.5, v17
	v_fmamk_f16 v108, v100, 0xbaee, v96
	v_add_f16_e32 v105, v14, v19
	v_fmac_f16_e32 v96, 0x3aee, v100
	v_add_f16_e32 v102, v13, v18
	v_fmamk_f16 v13, v101, 0xbaee, v3
	v_fmamk_f16 v14, v104, 0x3aee, v79
	v_add_f16_e32 v2, v98, v105
	v_fmac_f16_e32 v79, 0xbaee, v104
	v_add_f16_e32 v1, v99, v102
	v_mul_f16_e32 v106, 0x3aee, v13
	v_mul_f16_e32 v107, 0xbaee, v14
	v_fmac_f16_e32 v3, 0x3aee, v101
	s_delay_alu instid0(VALU_DEP_4) | instskip(NEXT) | instid1(VALU_DEP_4)
	v_pack_b32_f16 v1, v1, v2
	v_fmac_f16_e32 v106, 0.5, v14
	s_delay_alu instid0(VALU_DEP_4) | instskip(SKIP_3) | instid1(VALU_DEP_4)
	v_fmac_f16_e32 v107, 0.5, v13
	v_fmamk_f16 v2, v97, 0x3aee, v94
	v_fmac_f16_e32 v94, 0xbaee, v97
	v_sub_f16_e32 v97, v98, v105
	v_add_f16_e32 v14, v108, v107
	s_delay_alu instid0(VALU_DEP_4) | instskip(SKIP_1) | instid1(VALU_DEP_2)
	v_add_f16_e32 v13, v2, v106
	v_sub_f16_e32 v2, v2, v106
	v_pack_b32_f16 v109, v13, v14
	v_mul_u32_u24_e32 v13, 0x199a, v24
	s_delay_alu instid0(VALU_DEP_1) | instskip(SKIP_1) | instid1(VALU_DEP_1)
	v_lshrrev_b32_e32 v110, 16, v13
	v_mul_u32_u24_e32 v13, 0x199a, v49
	v_lshrrev_b32_e32 v111, 16, v13
	s_delay_alu instid0(VALU_DEP_3) | instskip(NEXT) | instid1(VALU_DEP_1)
	v_mul_lo_u16 v13, v110, 10
	v_sub_nc_u16 v112, v24, v13
	s_delay_alu instid0(VALU_DEP_3) | instskip(NEXT) | instid1(VALU_DEP_1)
	v_mul_lo_u16 v13, v111, 10
	v_sub_nc_u16 v117, v49, v13
	s_delay_alu instid0(VALU_DEP_3) | instskip(NEXT) | instid1(VALU_DEP_2)
	v_mul_lo_u16 v13, v112, 20
	v_mul_lo_u16 v14, v117, 20
	s_delay_alu instid0(VALU_DEP_2) | instskip(NEXT) | instid1(VALU_DEP_2)
	v_and_b32_e32 v13, 0xffff, v13
	v_and_b32_e32 v15, 0xffff, v14
	s_delay_alu instid0(VALU_DEP_2) | instskip(NEXT) | instid1(VALU_DEP_1)
	v_add_co_u32 v13, s4, s6, v13
	v_add_co_ci_u32_e64 v14, null, s7, 0, s4
	s_delay_alu instid0(VALU_DEP_3) | instskip(NEXT) | instid1(VALU_DEP_1)
	v_add_co_u32 v15, s4, s6, v15
	v_add_co_ci_u32_e64 v16, null, s7, 0, s4
	s_clause 0x3
	global_load_b32 v120, v[13:14], off offset:16
	global_load_b32 v122, v[15:16], off offset:16
	global_load_b128 v[17:20], v[15:16], off
	global_load_b128 v[13:16], v[13:14], off
	ds_load_2addr_stride64_b32 v[73:74], v58 offset0:4 offset1:6
	ds_load_2addr_stride64_b32 v[75:76], v58 offset0:24 offset1:26
	;; [unrolled: 1-line block ×3, first 2 shown]
	s_waitcnt vmcnt(0) lgkmcnt(0)
	s_barrier
	buffer_gl0_inv
	ds_store_2addr_b32 v123, v1, v109 offset1:10
	v_mul_f16_e32 v1, -0.5, v79
	s_delay_alu instid0(VALU_DEP_1) | instskip(SKIP_1) | instid1(VALU_DEP_2)
	v_fmac_f16_e32 v1, 0x3aee, v3
	v_mul_f16_e32 v3, -0.5, v3
	v_add_f16_e32 v98, v94, v1
	s_delay_alu instid0(VALU_DEP_2) | instskip(SKIP_2) | instid1(VALU_DEP_3)
	v_fmac_f16_e32 v3, 0xbaee, v79
	v_sub_f16_e32 v79, v99, v102
	v_sub_f16_e32 v1, v94, v1
	v_add_f16_e32 v99, v96, v3
	s_delay_alu instid0(VALU_DEP_3) | instskip(SKIP_1) | instid1(VALU_DEP_3)
	v_pack_b32_f16 v79, v79, v97
	v_sub_f16_e32 v3, v96, v3
	v_pack_b32_f16 v98, v98, v99
	s_delay_alu instid0(VALU_DEP_2)
	v_pack_b32_f16 v1, v1, v3
	v_sub_f16_e32 v3, v82, v84
	v_mul_f16_e32 v82, 0x3aee, v71
	ds_store_2addr_b32 v123, v98, v79 offset0:20 offset1:30
	v_sub_f16_e32 v79, v108, v107
	v_fmac_f16_e32 v82, 0.5, v92
	s_delay_alu instid0(VALU_DEP_2)
	v_pack_b32_f16 v2, v2, v79
	v_add_f16_e32 v79, v93, v89
	ds_store_2addr_b32 v123, v2, v1 offset0:40 offset1:50
	v_add_f16_e32 v1, v86, v83
	v_add_f16_e32 v2, v83, v85
	v_mul_f16_e32 v83, 0xbaee, v92
	s_delay_alu instid0(VALU_DEP_3) | instskip(NEXT) | instid1(VALU_DEP_3)
	v_add_f16_e32 v1, v1, v85
	v_fmac_f16_e32 v86, -0.5, v2
	s_delay_alu instid0(VALU_DEP_3) | instskip(SKIP_4) | instid1(VALU_DEP_4)
	v_fmac_f16_e32 v83, 0.5, v71
	v_and_b32_e32 v71, 0xffff, v80
	v_add_f16_e32 v2, v87, v84
	v_add_f16_e32 v80, v1, v79
	v_sub_f16_e32 v1, v1, v79
	v_mul_u32_u24_e32 v71, 60, v71
	s_delay_alu instid0(VALU_DEP_1) | instskip(SKIP_3) | instid1(VALU_DEP_3)
	v_add_lshl_u32 v124, v71, v81, 2
	v_add_f16_e32 v71, v2, v67
	v_sub_f16_e32 v2, v2, v67
	v_add_f16_e32 v81, v88, v82
	v_pack_b32_f16 v71, v71, v80
	v_fmamk_f16 v80, v3, 0xbaee, v86
	v_fmac_f16_e32 v86, 0x3aee, v3
	v_mul_f16_e32 v3, -0.5, v90
	v_pack_b32_f16 v1, v2, v1
	s_delay_alu instid0(VALU_DEP_4) | instskip(SKIP_1) | instid1(VALU_DEP_4)
	v_sub_f16_e32 v2, v80, v83
	v_add_f16_e32 v84, v80, v83
	v_fmac_f16_e32 v3, 0xbaee, v69
	s_delay_alu instid0(VALU_DEP_2) | instskip(NEXT) | instid1(VALU_DEP_2)
	v_pack_b32_f16 v81, v81, v84
	v_add_f16_e32 v67, v86, v3
	v_sub_f16_e32 v3, v86, v3
	ds_store_2addr_b32 v124, v71, v81 offset1:10
	v_pack_b32_f16 v67, v95, v67
	ds_store_2addr_b32 v124, v67, v1 offset0:20 offset1:30
	v_sub_f16_e32 v1, v88, v82
	s_delay_alu instid0(VALU_DEP_1)
	v_pack_b32_f16 v1, v1, v2
	v_pack_b32_f16 v2, v4, v3
	v_lshrrev_b32_e32 v4, 16, v68
	ds_store_2addr_b32 v124, v1, v2 offset0:40 offset1:50
	v_lshrrev_b32_e32 v1, 16, v72
	v_lshrrev_b32_e32 v87, 16, v120
	;; [unrolled: 1-line block ×7, first 2 shown]
	v_mul_f16_e32 v2, v1, v3
	v_mul_f16_e32 v67, v4, v69
	;; [unrolled: 1-line block ×3, first 2 shown]
	v_lshrrev_b32_e32 v84, 16, v20
	v_lshrrev_b32_e32 v85, 16, v16
	v_fma_f16 v2, v72, v17, -v2
	v_fma_f16 v67, v68, v19, -v67
	v_mul_f16_e32 v68, v68, v69
	v_lshrrev_b32_e32 v69, 16, v70
	v_lshrrev_b32_e32 v72, 16, v122
	v_fmac_f16_e32 v3, v1, v17
	v_lshrrev_b32_e32 v1, 16, v27
	v_fmac_f16_e32 v68, v4, v19
	v_mul_f16_e32 v83, v77, v84
	v_mul_f16_e32 v71, v69, v72
	s_delay_alu instid0(VALU_DEP_1) | instskip(SKIP_2) | instid1(VALU_DEP_2)
	v_fma_f16 v71, v70, v122, -v71
	v_mul_f16_e32 v70, v70, v72
	v_mul_f16_e32 v72, v75, v79
	v_fmac_f16_e32 v70, v69, v122
	v_lshrrev_b32_e32 v69, 16, v13
	s_delay_alu instid0(VALU_DEP_1) | instskip(NEXT) | instid1(VALU_DEP_1)
	v_mul_f16_e32 v4, v1, v69
	v_fma_f16 v4, v27, v13, -v4
	v_mul_f16_e32 v27, v27, v69
	v_lshrrev_b32_e32 v69, 16, v75
	s_delay_alu instid0(VALU_DEP_2) | instskip(NEXT) | instid1(VALU_DEP_2)
	v_fmac_f16_e32 v27, v1, v13
	v_fmac_f16_e32 v72, v69, v18
	v_mul_f16_e32 v69, v69, v79
	s_delay_alu instid0(VALU_DEP_1) | instskip(SKIP_1) | instid1(VALU_DEP_1)
	v_fma_f16 v69, v75, v18, -v69
	v_lshrrev_b32_e32 v75, 16, v76
	v_mul_f16_e32 v79, v75, v80
	s_delay_alu instid0(VALU_DEP_1) | instskip(SKIP_2) | instid1(VALU_DEP_2)
	v_fma_f16 v79, v76, v14, -v79
	v_mul_f16_e32 v76, v76, v80
	v_lshrrev_b32_e32 v80, 16, v23
	v_fmac_f16_e32 v76, v75, v14
	s_delay_alu instid0(VALU_DEP_2) | instskip(SKIP_1) | instid1(VALU_DEP_2)
	v_mul_f16_e32 v81, v80, v82
	v_lshrrev_b32_e32 v75, 16, v74
	v_fma_f16 v81, v23, v15, -v81
	v_mul_f16_e32 v23, v23, v82
	v_lshrrev_b32_e32 v82, 16, v77
	s_delay_alu instid0(VALU_DEP_2) | instskip(NEXT) | instid1(VALU_DEP_2)
	v_fmac_f16_e32 v23, v80, v15
	v_fmac_f16_e32 v83, v82, v20
	v_mul_f16_e32 v82, v82, v84
	v_add_f16_e32 v80, v74, v79
	s_delay_alu instid0(VALU_DEP_3) | instskip(NEXT) | instid1(VALU_DEP_3)
	v_add_f16_e32 v91, v72, v83
	v_fma_f16 v77, v77, v20, -v82
	v_lshrrev_b32_e32 v82, 16, v78
	s_delay_alu instid0(VALU_DEP_2) | instskip(NEXT) | instid1(VALU_DEP_2)
	v_add_f16_e32 v88, v69, v77
	v_mul_f16_e32 v84, v82, v85
	s_delay_alu instid0(VALU_DEP_2) | instskip(NEXT) | instid1(VALU_DEP_2)
	v_fma_f16 v88, -0.5, v88, v73
	v_fma_f16 v84, v78, v16, -v84
	v_mul_f16_e32 v78, v78, v85
	v_lshrrev_b32_e32 v85, 16, v25
	s_delay_alu instid0(VALU_DEP_3) | instskip(NEXT) | instid1(VALU_DEP_3)
	v_add_f16_e32 v1, v79, v84
	v_fmac_f16_e32 v78, v82, v16
	s_delay_alu instid0(VALU_DEP_3) | instskip(NEXT) | instid1(VALU_DEP_3)
	v_mul_f16_e32 v86, v85, v87
	v_fmac_f16_e32 v74, -0.5, v1
	s_delay_alu instid0(VALU_DEP_3) | instskip(NEXT) | instid1(VALU_DEP_3)
	v_sub_f16_e32 v1, v76, v78
	v_fma_f16 v86, v25, v120, -v86
	v_mul_f16_e32 v25, v25, v87
	s_delay_alu instid0(VALU_DEP_3) | instskip(SKIP_1) | instid1(VALU_DEP_3)
	v_fmamk_f16 v82, v1, 0x3aee, v74
	v_fmac_f16_e32 v74, 0xbaee, v1
	v_fmac_f16_e32 v25, v85, v120
	v_add_f16_e32 v1, v81, v86
	v_add_f16_e32 v85, v4, v81
	s_delay_alu instid0(VALU_DEP_2) | instskip(NEXT) | instid1(VALU_DEP_4)
	v_fmac_f16_e32 v4, -0.5, v1
	v_sub_f16_e32 v1, v23, v25
	s_delay_alu instid0(VALU_DEP_1) | instskip(SKIP_3) | instid1(VALU_DEP_2)
	v_fmamk_f16 v87, v1, 0x3aee, v4
	v_fmac_f16_e32 v4, 0xbaee, v1
	v_add_f16_e32 v1, v23, v25
	v_add_f16_e32 v23, v27, v23
	v_fmac_f16_e32 v27, -0.5, v1
	v_sub_f16_e32 v1, v81, v86
	s_delay_alu instid0(VALU_DEP_3) | instskip(NEXT) | instid1(VALU_DEP_2)
	v_add_f16_e32 v23, v23, v25
	v_fmamk_f16 v81, v1, 0xbaee, v27
	v_fmac_f16_e32 v27, 0x3aee, v1
	v_mul_f16_e32 v1, -0.5, v4
	s_delay_alu instid0(VALU_DEP_3) | instskip(NEXT) | instid1(VALU_DEP_2)
	v_mul_f16_e32 v25, 0x3aee, v81
	v_fmac_f16_e32 v1, 0x3aee, v27
	s_delay_alu instid0(VALU_DEP_2) | instskip(NEXT) | instid1(VALU_DEP_2)
	v_fmac_f16_e32 v25, 0.5, v87
	v_add_f16_e32 v89, v74, v1
	v_sub_f16_e32 v1, v74, v1
	v_lshrrev_b32_e32 v74, 16, v73
	v_add_f16_e32 v73, v73, v69
	v_sub_f16_e32 v69, v69, v77
	s_delay_alu instid0(VALU_DEP_3) | instskip(SKIP_1) | instid1(VALU_DEP_4)
	v_add_f16_e32 v90, v74, v72
	v_fmac_f16_e32 v74, -0.5, v91
	v_add_f16_e32 v73, v73, v77
	v_add_f16_e32 v77, v68, v70
	;; [unrolled: 1-line block ×3, first 2 shown]
	v_sub_f16_e32 v72, v72, v83
	v_add_f16_e32 v83, v90, v83
	v_add_f16_e32 v90, v3, v68
	v_fmac_f16_e32 v3, -0.5, v77
	v_add_f16_e32 v77, v2, v67
	v_sub_f16_e32 v67, v67, v71
	v_fmac_f16_e32 v2, -0.5, v91
	v_sub_f16_e32 v68, v68, v70
	v_add_f16_e32 v70, v90, v70
	v_add_f16_e32 v71, v77, v71
	v_fmamk_f16 v77, v67, 0xbaee, v3
	v_fmac_f16_e32 v3, 0x3aee, v67
	v_fmamk_f16 v90, v68, 0x3aee, v2
	v_fmac_f16_e32 v2, 0xbaee, v68
	v_add_f16_e32 v92, v73, v71
	v_mul_f16_e32 v91, 0x3aee, v77
	v_add_f16_e32 v93, v83, v70
	v_fmamk_f16 v94, v69, 0xbaee, v74
	v_mul_f16_e32 v67, -0.5, v2
	v_fmac_f16_e32 v74, 0x3aee, v69
	v_fmac_f16_e32 v91, 0.5, v90
	v_mul_f16_e32 v90, 0xbaee, v90
	v_pack_b32_f16 v92, v92, v93
	v_fmac_f16_e32 v67, 0x3aee, v3
	v_mul_f16_e32 v3, -0.5, v3
	v_fmamk_f16 v93, v72, 0x3aee, v88
	v_fmac_f16_e32 v90, 0.5, v77
	v_mad_u16 v77, v111, 60, v117
	v_fmac_f16_e32 v88, 0xbaee, v72
	v_fmac_f16_e32 v3, 0xbaee, v2
	v_sub_f16_e32 v2, v73, v71
	v_sub_f16_e32 v68, v83, v70
	v_and_b32_e32 v77, 0xffff, v77
	v_add_f16_e32 v69, v88, v67
	v_add_f16_e32 v70, v74, v3
	v_sub_f16_e32 v67, v88, v67
	v_pack_b32_f16 v2, v2, v68
	v_lshlrev_b32_e32 v127, 2, v77
	v_sub_f16_e32 v68, v94, v90
	v_pack_b32_f16 v69, v69, v70
	v_sub_f16_e32 v3, v74, v3
	v_mad_u16 v70, v110, 60, v112
	v_add_f16_e32 v95, v93, v91
	v_add_f16_e32 v96, v94, v90
	ds_store_2addr_b32 v127, v69, v2 offset0:20 offset1:30
	v_sub_f16_e32 v2, v93, v91
	v_pack_b32_f16 v3, v67, v3
	v_add_f16_e32 v67, v80, v84
	v_mul_f16_e32 v69, 0xbaee, v87
	v_and_b32_e32 v70, 0xffff, v70
	v_pack_b32_f16 v2, v2, v68
	v_add_f16_e32 v68, v85, v86
	v_pack_b32_f16 v95, v95, v96
	v_fmac_f16_e32 v69, 0.5, v81
	v_lshlrev_b32_e32 v132, 2, v70
	ds_store_2addr_b32 v127, v2, v3 offset0:40 offset1:50
	v_add_f16_e32 v3, v75, v76
	v_add_f16_e32 v2, v76, v78
	;; [unrolled: 1-line block ×3, first 2 shown]
	ds_store_2addr_b32 v127, v92, v95 offset1:10
	v_add_f16_e32 v73, v82, v25
	v_add_f16_e32 v3, v3, v78
	v_fmac_f16_e32 v75, -0.5, v2
	v_sub_f16_e32 v2, v79, v84
	s_delay_alu instid0(VALU_DEP_3) | instskip(SKIP_1) | instid1(VALU_DEP_2)
	v_add_f16_e32 v72, v3, v23
	v_sub_f16_e32 v3, v3, v23
	v_pack_b32_f16 v71, v71, v72
	s_delay_alu instid0(VALU_DEP_4) | instskip(SKIP_3) | instid1(VALU_DEP_4)
	v_fmamk_f16 v72, v2, 0xbaee, v75
	v_fmac_f16_e32 v75, 0x3aee, v2
	v_mul_f16_e32 v2, -0.5, v27
	v_mad_u16 v27, v50, 60, v51
	v_add_f16_e32 v74, v72, v69
	s_delay_alu instid0(VALU_DEP_3) | instskip(SKIP_1) | instid1(VALU_DEP_4)
	v_fmac_f16_e32 v2, 0xbaee, v4
	v_sub_f16_e32 v4, v67, v68
	v_and_b32_e32 v27, 0xffff, v27
	s_delay_alu instid0(VALU_DEP_4) | instskip(NEXT) | instid1(VALU_DEP_4)
	v_pack_b32_f16 v73, v73, v74
	v_add_f16_e32 v23, v75, v2
	s_delay_alu instid0(VALU_DEP_4)
	v_pack_b32_f16 v3, v4, v3
	v_sub_f16_e32 v4, v72, v69
	v_sub_f16_e32 v2, v75, v2
	v_lshlrev_b32_e32 v131, 2, v27
	v_pack_b32_f16 v23, v89, v23
	ds_store_2addr_b32 v132, v71, v73 offset1:10
	v_pack_b32_f16 v1, v1, v2
	v_add_f16_e32 v2, v28, v59
	ds_store_2addr_b32 v132, v23, v3 offset0:20 offset1:30
	v_sub_f16_e32 v3, v82, v25
	v_mul_f16_e32 v23, 0x3aee, v63
	v_mul_f16_e32 v25, 0xbaee, v56
	v_add_f16_e32 v2, v2, v60
	s_delay_alu instid0(VALU_DEP_4)
	v_pack_b32_f16 v3, v3, v4
	v_add_f16_e32 v4, v55, v53
	v_fmac_f16_e32 v23, 0.5, v56
	v_fmac_f16_e32 v25, 0.5, v63
	v_mul_u32_u24_e32 v56, 0x889, v46
	ds_store_2addr_b32 v132, v3, v1 offset0:40 offset1:50
	v_add_f16_e32 v1, v59, v60
	v_add_f16_e32 v3, v64, v62
	;; [unrolled: 1-line block ×3, first 2 shown]
	v_sub_f16_e32 v2, v2, v4
	v_add_f16_e32 v53, v57, v23
	v_fmac_f16_e32 v28, -0.5, v1
	v_sub_f16_e32 v1, v61, v62
	v_add_f16_e32 v50, v3, v0
	v_sub_f16_e32 v0, v3, v0
	v_mul_u32_u24_e32 v60, 0x445, v48
	v_or_b32_e32 v62, 0x300, v241
	v_mul_u32_u24_e32 v59, 0x889, v44
	v_pack_b32_f16 v50, v50, v51
	v_fmamk_f16 v51, v1, 0xbaee, v28
	v_fmac_f16_e32 v28, 0x3aee, v1
	v_mul_f16_e32 v1, -0.5, v52
	v_pack_b32_f16 v0, v0, v2
	v_lshrrev_b32_e32 v92, 16, v60
	v_sub_f16_e32 v2, v51, v25
	v_add_f16_e32 v54, v51, v25
	v_fmac_f16_e32 v1, 0xbaee, v26
	v_mul_u32_u24_e32 v63, 0x445, v62
	v_lshrrev_b32_e32 v100, 17, v59
	v_lshrrev_b32_e32 v105, 17, v56
	v_pack_b32_f16 v53, v53, v54
	v_add_f16_e32 v3, v28, v1
	v_sub_f16_e32 v1, v28, v1
	v_lshrrev_b32_e32 v96, 16, v63
	v_mul_u32_u24_e32 v55, 0x889, v47
	ds_store_2addr_b32 v131, v50, v53 offset1:10
	v_pack_b32_f16 v3, v65, v3
	v_pack_b32_f16 v1, v66, v1
	v_or_b32_e32 v50, 0x280, v241
	v_lshrrev_b32_e32 v107, 17, v55
	ds_store_2addr_b32 v131, v3, v0 offset0:20 offset1:30
	v_sub_f16_e32 v0, v57, v23
	v_mul_lo_u16 v23, 0x89, v22
	v_mul_u32_u24_e32 v3, 0x445, v24
	v_mul_u32_u24_e32 v61, 0x445, v50
	;; [unrolled: 1-line block ×3, first 2 shown]
	v_pack_b32_f16 v0, v0, v2
	v_mul_u32_u24_e32 v2, 0x445, v49
	v_lshrrev_b32_e32 v3, 16, v3
	v_lshrrev_b32_e32 v94, 16, v61
	;; [unrolled: 1-line block ×3, first 2 shown]
	ds_store_2addr_b32 v131, v0, v1 offset0:40 offset1:50
	v_mul_lo_u16 v0, 0x89, v241
	v_lshrrev_b32_e32 v2, 16, v2
	v_mul_lo_u16 v25, v3, 60
	s_delay_alu instid0(VALU_DEP_3) | instskip(NEXT) | instid1(VALU_DEP_3)
	v_lshrrev_b16 v0, 13, v0
	v_mul_lo_u16 v4, v2, 60
	s_delay_alu instid0(VALU_DEP_3) | instskip(NEXT) | instid1(VALU_DEP_3)
	v_sub_nc_u16 v25, v24, v25
	v_mul_lo_u16 v1, v0, 60
	v_and_b32_e32 v0, 0xffff, v0
	s_delay_alu instid0(VALU_DEP_4) | instskip(NEXT) | instid1(VALU_DEP_4)
	v_sub_nc_u16 v4, v49, v4
	v_mad_u16 v3, 0x78, v3, v25
	s_delay_alu instid0(VALU_DEP_4) | instskip(NEXT) | instid1(VALU_DEP_4)
	v_sub_nc_u16 v1, v241, v1
	v_mul_u32_u24_e32 v0, 0x78, v0
	s_delay_alu instid0(VALU_DEP_4) | instskip(NEXT) | instid1(VALU_DEP_3)
	v_and_b32_e32 v26, 0xffff, v4
	v_and_b32_e32 v1, 0xff, v1
	s_delay_alu instid0(VALU_DEP_2) | instskip(SKIP_1) | instid1(VALU_DEP_3)
	v_lshlrev_b32_e32 v27, 2, v26
	v_mul_lo_u16 v26, v92, 60
	v_add_lshl_u32 v125, v0, v1, 2
	v_lshlrev_b32_e32 v0, 2, v1
	s_delay_alu instid0(VALU_DEP_3)
	v_sub_nc_u16 v93, v48, v26
	v_mul_lo_u16 v26, v94, 60
	scratch_store_b32 off, v125, off offset:184 ; 4-byte Folded Spill
	s_waitcnt lgkmcnt(0)
	s_waitcnt_vscnt null, 0x0
	s_barrier
	buffer_gl0_inv
	global_load_b32 v164, v0, s[6:7] offset:200
	v_lshrrev_b16 v0, 13, v23
	v_sub_nc_u16 v95, v50, v26
	v_and_b32_e32 v26, 0xffff, v25
	global_load_b32 v148, v27, s[6:7] offset:200
	v_mul_lo_u16 v1, v0, 60
	v_and_b32_e32 v53, 0xffff, v95
	v_lshlrev_b32_e32 v28, 2, v26
	v_and_b32_e32 v0, 0xffff, v0
	s_delay_alu instid0(VALU_DEP_4) | instskip(NEXT) | instid1(VALU_DEP_4)
	v_sub_nc_u16 v1, v22, v1
	v_lshlrev_b32_e32 v53, 2, v53
	s_delay_alu instid0(VALU_DEP_3) | instskip(NEXT) | instid1(VALU_DEP_3)
	v_mul_u32_u24_e32 v0, 0x78, v0
	v_and_b32_e32 v1, 0xff, v1
	s_delay_alu instid0(VALU_DEP_1) | instskip(SKIP_2) | instid1(VALU_DEP_1)
	v_lshlrev_b32_e32 v26, 2, v1
	global_load_b32 v147, v26, s[6:7] offset:200
	v_mul_lo_u16 v26, v96, 60
	v_sub_nc_u16 v97, v62, v26
	v_or_b32_e32 v26, 0x380, v241
	s_delay_alu instid0(VALU_DEP_2) | instskip(NEXT) | instid1(VALU_DEP_2)
	v_and_b32_e32 v54, 0xffff, v97
	v_mul_u32_u24_e32 v51, 0x445, v26
	s_delay_alu instid0(VALU_DEP_2) | instskip(NEXT) | instid1(VALU_DEP_2)
	v_lshlrev_b32_e32 v54, 2, v54
	v_lshrrev_b32_e32 v98, 16, v51
	s_delay_alu instid0(VALU_DEP_1) | instskip(NEXT) | instid1(VALU_DEP_1)
	v_mul_lo_u16 v52, v98, 60
	v_sub_nc_u16 v99, v26, v52
	v_and_b32_e32 v52, 0xffff, v93
	s_delay_alu instid0(VALU_DEP_2) | instskip(NEXT) | instid1(VALU_DEP_2)
	v_and_b32_e32 v27, 0xffff, v99
	v_lshlrev_b32_e32 v52, 2, v52
	s_delay_alu instid0(VALU_DEP_2)
	v_lshlrev_b32_e32 v27, 2, v27
	s_clause 0x4
	global_load_b32 v145, v28, s[6:7] offset:200
	global_load_b32 v144, v52, s[6:7] offset:200
	;; [unrolled: 1-line block ×5, first 2 shown]
	ds_load_2addr_stride64_b32 v[27:28], v58 offset0:28 offset1:30
	ds_load_2addr_stride64_b32 v[64:65], v58 offset1:2
	s_waitcnt lgkmcnt(1)
	v_lshrrev_b32_e32 v52, 16, v28
	s_waitcnt vmcnt(7)
	v_lshrrev_b32_e32 v54, 16, v164
	s_delay_alu instid0(VALU_DEP_1) | instskip(NEXT) | instid1(VALU_DEP_1)
	v_mul_f16_e32 v53, v28, v54
	v_fmac_f16_e64 v53, v52, v164
	v_mul_f16_e32 v52, v52, v54
	s_delay_alu instid0(VALU_DEP_1) | instskip(SKIP_2) | instid1(VALU_DEP_2)
	v_fma_f16 v28, v28, v164, -v52
	s_waitcnt lgkmcnt(0)
	v_lshrrev_b32_e32 v52, 16, v64
	v_sub_f16_e32 v28, v64, v28
	s_delay_alu instid0(VALU_DEP_2) | instskip(NEXT) | instid1(VALU_DEP_2)
	v_sub_f16_e32 v53, v52, v53
	v_fma_f16 v54, v64, 2.0, -v28
	s_delay_alu instid0(VALU_DEP_2) | instskip(SKIP_2) | instid1(VALU_DEP_3)
	v_fma_f16 v52, v52, 2.0, -v53
	v_pack_b32_f16 v28, v28, v53
	v_mul_u32_u24_e32 v53, 0x889, v42
	v_pack_b32_f16 v64, v54, v52
	v_mul_lo_u16 v52, v100, 60
	v_mul_u32_u24_e32 v54, 0x889, v21
	s_delay_alu instid0(VALU_DEP_4) | instskip(NEXT) | instid1(VALU_DEP_3)
	v_lshrrev_b32_e32 v111, 17, v53
	v_sub_nc_u16 v101, v44, v52
	s_delay_alu instid0(VALU_DEP_3) | instskip(NEXT) | instid1(VALU_DEP_2)
	v_lshrrev_b32_e32 v109, 17, v54
	v_and_b32_e32 v52, 0xffff, v101
	s_delay_alu instid0(VALU_DEP_1) | instskip(SKIP_1) | instid1(VALU_DEP_1)
	v_lshlrev_b32_e32 v66, 2, v52
	v_mul_lo_u16 v52, v102, 60
	v_sub_nc_u16 v104, v43, v52
	v_mul_lo_u16 v52, v105, 60
	s_delay_alu instid0(VALU_DEP_1) | instskip(NEXT) | instid1(VALU_DEP_3)
	v_sub_nc_u16 v106, v46, v52
	v_and_b32_e32 v52, 0xffff, v104
	s_delay_alu instid0(VALU_DEP_1) | instskip(NEXT) | instid1(VALU_DEP_3)
	v_lshlrev_b32_e32 v67, 2, v52
	v_and_b32_e32 v52, 0xffff, v106
	s_delay_alu instid0(VALU_DEP_1) | instskip(SKIP_1) | instid1(VALU_DEP_1)
	v_lshlrev_b32_e32 v68, 2, v52
	v_mul_lo_u16 v52, v107, 60
	v_sub_nc_u16 v108, v47, v52
	v_mul_lo_u16 v52, v109, 60
	s_delay_alu instid0(VALU_DEP_1) | instskip(NEXT) | instid1(VALU_DEP_3)
	v_sub_nc_u16 v110, v21, v52
	v_and_b32_e32 v52, 0xffff, v108
	s_delay_alu instid0(VALU_DEP_1) | instskip(NEXT) | instid1(VALU_DEP_3)
	v_lshlrev_b32_e32 v69, 2, v52
	v_and_b32_e32 v52, 0xffff, v110
	s_delay_alu instid0(VALU_DEP_1) | instskip(SKIP_1) | instid1(VALU_DEP_1)
	v_lshlrev_b32_e32 v70, 2, v52
	v_mul_lo_u16 v52, v111, 60
	v_sub_nc_u16 v112, v42, v52
	v_mul_u32_u24_e32 v52, 0x889, v45
	s_delay_alu instid0(VALU_DEP_1) | instskip(NEXT) | instid1(VALU_DEP_1)
	v_lshrrev_b32_e32 v117, 17, v52
	v_mul_lo_u16 v71, v117, 60
	s_delay_alu instid0(VALU_DEP_1) | instskip(SKIP_1) | instid1(VALU_DEP_2)
	v_sub_nc_u16 v121, v45, v71
	v_and_b32_e32 v71, 0xffff, v112
	v_and_b32_e32 v72, 0xffff, v121
	s_delay_alu instid0(VALU_DEP_2) | instskip(NEXT) | instid1(VALU_DEP_2)
	v_lshlrev_b32_e32 v71, 2, v71
	v_lshlrev_b32_e32 v72, 2, v72
	s_clause 0x6
	global_load_b32 v146, v66, s[6:7] offset:200
	global_load_b32 v143, v67, s[6:7] offset:200
	;; [unrolled: 1-line block ×7, first 2 shown]
	ds_load_2addr_stride64_b32 v[66:67], v58 offset0:32 offset1:34
	ds_load_2addr_stride64_b32 v[68:69], v58 offset0:4 offset1:6
	;; [unrolled: 1-line block ×13, first 2 shown]
	s_waitcnt vmcnt(0) lgkmcnt(0)
	s_barrier
	buffer_gl0_inv
	ds_store_2addr_b32 v125, v64, v28 offset1:60
	v_lshrrev_b32_e32 v125, 16, v147
	v_lshrrev_b32_e32 v28, 16, v66
	s_delay_alu instid0(VALU_DEP_2) | instskip(NEXT) | instid1(VALU_DEP_1)
	v_mul_f16_e32 v64, v66, v125
	v_fmac_f16_e64 v64, v28, v147
	v_mul_f16_e32 v28, v28, v125
	v_add_lshl_u32 v125, v0, v1, 2
	s_delay_alu instid0(VALU_DEP_2) | instskip(SKIP_1) | instid1(VALU_DEP_2)
	v_fma_f16 v28, v66, v147, -v28
	v_lshrrev_b32_e32 v66, 16, v65
	v_sub_f16_e32 v28, v65, v28
	s_delay_alu instid0(VALU_DEP_2) | instskip(NEXT) | instid1(VALU_DEP_2)
	v_sub_f16_e32 v0, v66, v64
	v_fma_f16 v65, v65, 2.0, -v28
	s_delay_alu instid0(VALU_DEP_2) | instskip(SKIP_2) | instid1(VALU_DEP_3)
	v_fma_f16 v1, v66, 2.0, -v0
	v_pack_b32_f16 v0, v28, v0
	v_lshrrev_b32_e32 v28, 16, v148
	v_pack_b32_f16 v1, v65, v1
	ds_store_2addr_b32 v125, v1, v0 offset1:60
	v_lshrrev_b32_e32 v0, 16, v67
	s_delay_alu instid0(VALU_DEP_1) | instskip(SKIP_1) | instid1(VALU_DEP_2)
	v_mul_f16_e32 v1, v0, v28
	v_mul_f16_e32 v28, v67, v28
	v_fma_f16 v1, v67, v148, -v1
	s_delay_alu instid0(VALU_DEP_2) | instskip(SKIP_2) | instid1(VALU_DEP_4)
	v_fmac_f16_e64 v28, v0, v148
	v_mad_u16 v0, 0x78, v2, v4
	v_lshrrev_b32_e32 v2, 16, v68
	v_sub_f16_e32 v1, v68, v1
	s_delay_alu instid0(VALU_DEP_3) | instskip(NEXT) | instid1(VALU_DEP_3)
	v_and_b32_e32 v0, 0xffff, v0
	v_sub_f16_e32 v4, v2, v28
	s_delay_alu instid0(VALU_DEP_3) | instskip(NEXT) | instid1(VALU_DEP_3)
	v_fma_f16 v28, v68, 2.0, -v1
	v_lshlrev_b32_e32 v0, 2, v0
	s_delay_alu instid0(VALU_DEP_3)
	v_fma_f16 v2, v2, 2.0, -v4
	v_pack_b32_f16 v1, v1, v4
	s_clause 0x1
	scratch_store_b32 off, v125, off offset:188
	scratch_store_b32 off, v0, off offset:192
	v_pack_b32_f16 v2, v28, v2
	ds_store_2addr_b32 v0, v2, v1 offset1:60
	v_lshrrev_b32_e32 v2, 16, v145
	v_lshrrev_b32_e32 v0, 16, v70
	s_delay_alu instid0(VALU_DEP_2) | instskip(NEXT) | instid1(VALU_DEP_1)
	v_mul_f16_e32 v1, v70, v2
	v_fmac_f16_e64 v1, v0, v145
	v_mul_f16_e32 v0, v0, v2
	v_lshrrev_b32_e32 v2, 16, v69
	s_delay_alu instid0(VALU_DEP_2) | instskip(NEXT) | instid1(VALU_DEP_2)
	v_fma_f16 v0, v70, v145, -v0
	v_sub_f16_e32 v1, v2, v1
	s_delay_alu instid0(VALU_DEP_2) | instskip(NEXT) | instid1(VALU_DEP_2)
	v_sub_f16_e32 v0, v69, v0
	v_fma_f16 v2, v2, 2.0, -v1
	s_delay_alu instid0(VALU_DEP_2) | instskip(SKIP_3) | instid1(VALU_DEP_4)
	v_fma_f16 v4, v69, 2.0, -v0
	v_pack_b32_f16 v0, v0, v1
	v_and_b32_e32 v1, 0xffff, v3
	v_lshrrev_b32_e32 v3, 16, v72
	v_pack_b32_f16 v2, v4, v2
	s_delay_alu instid0(VALU_DEP_3)
	v_lshlrev_b32_e32 v1, 2, v1
	ds_store_2addr_b32 v1, v2, v0 offset1:60
	v_lshrrev_b32_e32 v0, 16, v71
	v_lshrrev_b32_e32 v2, 16, v144
	scratch_store_b32 off, v1, off offset:196 ; 4-byte Folded Spill
	v_mul_f16_e32 v1, v0, v2
	v_mul_f16_e32 v2, v71, v2
	s_delay_alu instid0(VALU_DEP_2) | instskip(NEXT) | instid1(VALU_DEP_2)
	v_fma_f16 v1, v71, v144, -v1
	v_fmac_f16_e64 v2, v0, v144
	v_mad_u16 v0, 0x78, v92, v93
	v_lshrrev_b32_e32 v93, 17, v61
	s_delay_alu instid0(VALU_DEP_4) | instskip(NEXT) | instid1(VALU_DEP_4)
	v_sub_f16_e32 v1, v72, v1
	v_sub_f16_e32 v2, v3, v2
	s_delay_alu instid0(VALU_DEP_4) | instskip(NEXT) | instid1(VALU_DEP_3)
	v_and_b32_e32 v0, 0xffff, v0
	v_fma_f16 v4, v72, 2.0, -v1
	s_delay_alu instid0(VALU_DEP_3) | instskip(SKIP_1) | instid1(VALU_DEP_4)
	v_fma_f16 v3, v3, 2.0, -v2
	v_pack_b32_f16 v1, v1, v2
	v_lshlrev_b32_e32 v0, 2, v0
	v_lshrrev_b32_e32 v2, 16, v142
	s_delay_alu instid0(VALU_DEP_4)
	v_pack_b32_f16 v3, v4, v3
	v_mad_u16 v4, 0x78, v94, v95
	scratch_store_b32 off, v0, off offset:200 ; 4-byte Folded Spill
	v_lshrrev_b32_e32 v95, 17, v63
	ds_store_2addr_b32 v0, v3, v1 offset1:60
	v_lshrrev_b32_e32 v0, 16, v74
	v_mul_f16_e32 v1, v74, v2
	s_delay_alu instid0(VALU_DEP_1) | instskip(SKIP_2) | instid1(VALU_DEP_2)
	v_fmac_f16_e64 v1, v0, v142
	v_mul_f16_e32 v0, v0, v2
	v_lshrrev_b32_e32 v2, 16, v73
	v_fma_f16 v0, v74, v142, -v0
	s_delay_alu instid0(VALU_DEP_2) | instskip(NEXT) | instid1(VALU_DEP_2)
	v_sub_f16_e32 v1, v2, v1
	v_sub_f16_e32 v0, v73, v0
	s_delay_alu instid0(VALU_DEP_2) | instskip(NEXT) | instid1(VALU_DEP_2)
	v_fma_f16 v2, v2, 2.0, -v1
	v_fma_f16 v3, v73, 2.0, -v0
	v_pack_b32_f16 v0, v0, v1
	v_and_b32_e32 v1, 0xffff, v4
	s_delay_alu instid0(VALU_DEP_3) | instskip(SKIP_1) | instid1(VALU_DEP_3)
	v_pack_b32_f16 v2, v3, v2
	v_lshrrev_b32_e32 v3, 16, v76
	v_lshlrev_b32_e32 v1, 2, v1
	ds_store_2addr_b32 v1, v2, v0 offset1:60
	v_lshrrev_b32_e32 v0, 16, v75
	v_lshrrev_b32_e32 v2, 16, v140
	scratch_store_b32 off, v1, off offset:204 ; 4-byte Folded Spill
	v_mul_f16_e32 v1, v0, v2
	v_mul_f16_e32 v2, v75, v2
	s_delay_alu instid0(VALU_DEP_2) | instskip(NEXT) | instid1(VALU_DEP_2)
	v_fma_f16 v1, v75, v140, -v1
	v_fmac_f16_e64 v2, v0, v140
	v_mad_u16 v0, 0x78, v96, v97
	v_lshrrev_b32_e32 v97, 17, v51
	s_delay_alu instid0(VALU_DEP_4) | instskip(NEXT) | instid1(VALU_DEP_4)
	v_sub_f16_e32 v1, v76, v1
	v_sub_f16_e32 v2, v3, v2
	s_delay_alu instid0(VALU_DEP_4) | instskip(NEXT) | instid1(VALU_DEP_3)
	v_and_b32_e32 v0, 0xffff, v0
	v_fma_f16 v4, v76, 2.0, -v1
	s_delay_alu instid0(VALU_DEP_3) | instskip(SKIP_1) | instid1(VALU_DEP_4)
	v_fma_f16 v3, v3, 2.0, -v2
	v_pack_b32_f16 v1, v1, v2
	v_lshlrev_b32_e32 v0, 2, v0
	v_lshrrev_b32_e32 v2, 16, v138
	s_delay_alu instid0(VALU_DEP_4)
	v_pack_b32_f16 v3, v4, v3
	v_mad_u16 v4, 0x78, v98, v99
	scratch_store_b32 off, v0, off offset:208 ; 4-byte Folded Spill
	v_lshrrev_b32_e32 v99, 18, v59
	ds_store_2addr_b32 v0, v3, v1 offset1:60
	v_lshrrev_b32_e32 v0, 16, v78
	v_mul_f16_e32 v1, v78, v2
	s_delay_alu instid0(VALU_DEP_1) | instskip(SKIP_2) | instid1(VALU_DEP_2)
	v_fmac_f16_e64 v1, v0, v138
	v_mul_f16_e32 v0, v0, v2
	v_lshrrev_b32_e32 v2, 16, v77
	v_fma_f16 v0, v78, v138, -v0
	s_delay_alu instid0(VALU_DEP_2) | instskip(NEXT) | instid1(VALU_DEP_2)
	v_sub_f16_e32 v1, v2, v1
	v_sub_f16_e32 v0, v77, v0
	s_delay_alu instid0(VALU_DEP_2) | instskip(NEXT) | instid1(VALU_DEP_2)
	v_fma_f16 v2, v2, 2.0, -v1
	v_fma_f16 v3, v77, 2.0, -v0
	v_pack_b32_f16 v0, v0, v1
	v_and_b32_e32 v1, 0xffff, v4
	s_delay_alu instid0(VALU_DEP_3) | instskip(SKIP_1) | instid1(VALU_DEP_3)
	v_pack_b32_f16 v2, v3, v2
	v_lshrrev_b32_e32 v3, 16, v80
	v_lshlrev_b32_e32 v1, 2, v1
	ds_store_2addr_b32 v1, v2, v0 offset1:60
	v_lshrrev_b32_e32 v0, 16, v79
	scratch_store_b32 off, v1, off offset:212 ; 4-byte Folded Spill
	v_lshrrev_b32_e32 v2, 16, v146
	s_delay_alu instid0(VALU_DEP_1) | instskip(SKIP_1) | instid1(VALU_DEP_2)
	v_mul_f16_e32 v1, v0, v2
	v_mul_f16_e32 v2, v79, v2
	v_fma_f16 v1, v79, v146, -v1
	s_delay_alu instid0(VALU_DEP_2) | instskip(SKIP_2) | instid1(VALU_DEP_4)
	v_fmac_f16_e64 v2, v0, v146
	v_mad_u16 v0, 0x78, v100, v101
	v_lshrrev_b32_e32 v101, 18, v57
	v_sub_f16_e32 v1, v80, v1
	s_delay_alu instid0(VALU_DEP_4) | instskip(NEXT) | instid1(VALU_DEP_4)
	v_sub_f16_e32 v2, v3, v2
	v_and_b32_e32 v0, 0xffff, v0
	s_delay_alu instid0(VALU_DEP_3) | instskip(NEXT) | instid1(VALU_DEP_3)
	v_fma_f16 v4, v80, 2.0, -v1
	v_fma_f16 v3, v3, 2.0, -v2
	v_pack_b32_f16 v1, v1, v2
	s_delay_alu instid0(VALU_DEP_4) | instskip(SKIP_1) | instid1(VALU_DEP_4)
	v_lshlrev_b32_e32 v0, 2, v0
	v_lshrrev_b32_e32 v2, 16, v143
	v_pack_b32_f16 v3, v4, v3
	v_mad_u16 v4, 0x78, v102, v104
	scratch_store_b32 off, v0, off offset:216 ; 4-byte Folded Spill
	v_lshrrev_b32_e32 v104, 18, v56
	ds_store_2addr_b32 v0, v3, v1 offset1:60
	v_lshrrev_b32_e32 v0, 16, v82
	v_mul_f16_e32 v1, v82, v2
	s_delay_alu instid0(VALU_DEP_1) | instskip(SKIP_2) | instid1(VALU_DEP_2)
	v_fmac_f16_e64 v1, v0, v143
	v_mul_f16_e32 v0, v0, v2
	v_lshrrev_b32_e32 v2, 16, v81
	v_fma_f16 v0, v82, v143, -v0
	s_delay_alu instid0(VALU_DEP_2) | instskip(NEXT) | instid1(VALU_DEP_2)
	v_sub_f16_e32 v1, v2, v1
	v_sub_f16_e32 v0, v81, v0
	s_delay_alu instid0(VALU_DEP_2) | instskip(NEXT) | instid1(VALU_DEP_2)
	v_fma_f16 v2, v2, 2.0, -v1
	v_fma_f16 v3, v81, 2.0, -v0
	v_pack_b32_f16 v0, v0, v1
	v_and_b32_e32 v1, 0xffff, v4
	s_delay_alu instid0(VALU_DEP_3) | instskip(SKIP_1) | instid1(VALU_DEP_3)
	v_pack_b32_f16 v2, v3, v2
	v_lshrrev_b32_e32 v3, 16, v84
	v_lshlrev_b32_e32 v1, 2, v1
	ds_store_2addr_b32 v1, v2, v0 offset1:60
	v_lshrrev_b32_e32 v0, 16, v83
	v_lshrrev_b32_e32 v2, 16, v141
	scratch_store_b32 off, v1, off offset:220 ; 4-byte Folded Spill
	v_mul_f16_e32 v1, v0, v2
	v_mul_f16_e32 v2, v83, v2
	s_delay_alu instid0(VALU_DEP_2) | instskip(NEXT) | instid1(VALU_DEP_2)
	v_fma_f16 v1, v83, v141, -v1
	v_fmac_f16_e64 v2, v0, v141
	v_mad_u16 v0, 0x78, v105, v106
	v_lshrrev_b32_e32 v106, 18, v55
	s_delay_alu instid0(VALU_DEP_4) | instskip(NEXT) | instid1(VALU_DEP_4)
	v_sub_f16_e32 v1, v84, v1
	v_sub_f16_e32 v2, v3, v2
	s_delay_alu instid0(VALU_DEP_4) | instskip(NEXT) | instid1(VALU_DEP_4)
	v_and_b32_e32 v0, 0xffff, v0
	v_mul_lo_u16 v68, 0x78, v106
	s_delay_alu instid0(VALU_DEP_4) | instskip(NEXT) | instid1(VALU_DEP_4)
	v_fma_f16 v4, v84, 2.0, -v1
	v_fma_f16 v3, v3, 2.0, -v2
	v_pack_b32_f16 v1, v1, v2
	v_lshlrev_b32_e32 v0, 2, v0
	v_lshrrev_b32_e32 v2, 16, v139
	s_delay_alu instid0(VALU_DEP_4)
	v_pack_b32_f16 v3, v4, v3
	v_mad_u16 v4, 0x78, v107, v108
	scratch_store_b32 off, v0, off offset:224 ; 4-byte Folded Spill
	v_lshrrev_b32_e32 v108, 18, v54
	v_sub_nc_u16 v107, v47, v68
	ds_store_2addr_b32 v0, v3, v1 offset1:60
	v_lshrrev_b32_e32 v0, 16, v86
	v_mul_f16_e32 v1, v86, v2
	v_mul_lo_u16 v68, 0x78, v108
	s_delay_alu instid0(VALU_DEP_2) | instskip(SKIP_2) | instid1(VALU_DEP_2)
	v_fmac_f16_e64 v1, v0, v139
	v_mul_f16_e32 v0, v0, v2
	v_lshrrev_b32_e32 v2, 16, v85
	v_fma_f16 v0, v86, v139, -v0
	s_delay_alu instid0(VALU_DEP_2) | instskip(NEXT) | instid1(VALU_DEP_2)
	v_sub_f16_e32 v1, v2, v1
	v_sub_f16_e32 v0, v85, v0
	s_delay_alu instid0(VALU_DEP_2) | instskip(NEXT) | instid1(VALU_DEP_2)
	v_fma_f16 v2, v2, 2.0, -v1
	v_fma_f16 v3, v85, 2.0, -v0
	v_pack_b32_f16 v0, v0, v1
	v_and_b32_e32 v1, 0xffff, v4
	s_delay_alu instid0(VALU_DEP_3) | instskip(SKIP_1) | instid1(VALU_DEP_3)
	v_pack_b32_f16 v2, v3, v2
	v_lshrrev_b32_e32 v3, 16, v88
	v_lshlrev_b32_e32 v1, 2, v1
	ds_store_2addr_b32 v1, v2, v0 offset1:60
	v_lshrrev_b32_e32 v0, 16, v87
	v_lshrrev_b32_e32 v2, 16, v137
	scratch_store_b32 off, v1, off offset:228 ; 4-byte Folded Spill
	v_mul_f16_e32 v1, v0, v2
	v_mul_f16_e32 v2, v87, v2
	s_delay_alu instid0(VALU_DEP_2) | instskip(NEXT) | instid1(VALU_DEP_2)
	v_fma_f16 v1, v87, v137, -v1
	v_fmac_f16_e64 v2, v0, v137
	v_mad_u16 v0, 0x78, v109, v110
	v_lshrrev_b32_e32 v110, 18, v53
	v_sub_nc_u16 v109, v21, v68
	v_sub_f16_e32 v1, v88, v1
	v_sub_f16_e32 v2, v3, v2
	v_and_b32_e32 v0, 0xffff, v0
	v_mul_lo_u16 v70, 0x78, v110
	v_and_b32_e32 v68, 0xffff, v107
	v_fma_f16 v4, v88, 2.0, -v1
	v_fma_f16 v3, v3, 2.0, -v2
	v_pack_b32_f16 v1, v1, v2
	v_lshlrev_b32_e32 v0, 2, v0
	v_lshrrev_b32_e32 v2, 16, v135
	v_and_b32_e32 v69, 0xffff, v109
	v_pack_b32_f16 v3, v4, v3
	v_mad_u16 v4, 0x78, v111, v112
	scratch_store_b32 off, v0, off offset:232 ; 4-byte Folded Spill
	v_lshrrev_b32_e32 v112, 18, v52
	v_sub_nc_u16 v111, v42, v70
	ds_store_2addr_b32 v0, v3, v1 offset1:60
	v_lshrrev_b32_e32 v0, 16, v90
	v_mul_f16_e32 v1, v90, v2
	v_mul_lo_u16 v70, 0x78, v112
	v_lshlrev_b32_e32 v68, 2, v68
	v_lshlrev_b32_e32 v69, 2, v69
	s_delay_alu instid0(VALU_DEP_4) | instskip(SKIP_2) | instid1(VALU_DEP_2)
	v_fmac_f16_e64 v1, v0, v135
	v_mul_f16_e32 v0, v0, v2
	v_lshrrev_b32_e32 v2, 16, v89
	v_fma_f16 v0, v90, v135, -v0
	s_delay_alu instid0(VALU_DEP_2) | instskip(NEXT) | instid1(VALU_DEP_2)
	v_sub_f16_e32 v1, v2, v1
	v_sub_f16_e32 v0, v89, v0
	s_delay_alu instid0(VALU_DEP_2) | instskip(NEXT) | instid1(VALU_DEP_2)
	v_fma_f16 v2, v2, 2.0, -v1
	v_fma_f16 v3, v89, 2.0, -v0
	v_pack_b32_f16 v0, v0, v1
	v_and_b32_e32 v1, 0xffff, v4
	v_mad_u16 v4, 0x78, v117, v121
	v_sub_nc_u16 v117, v45, v70
	v_pack_b32_f16 v2, v3, v2
	v_and_b32_e32 v70, 0xffff, v111
	v_lshlrev_b32_e32 v1, 2, v1
	s_delay_alu instid0(VALU_DEP_4) | instskip(NEXT) | instid1(VALU_DEP_3)
	v_and_b32_e32 v71, 0xffff, v117
	v_lshlrev_b32_e32 v70, 2, v70
	ds_store_2addr_b32 v1, v2, v0 offset1:60
	v_lshrrev_b32_e32 v0, 16, v91
	v_lshrrev_b32_e32 v2, 16, v134
	scratch_store_b32 off, v1, off offset:236 ; 4-byte Folded Spill
	v_lshlrev_b32_e32 v71, 2, v71
	v_mul_f16_e32 v1, v0, v2
	v_mul_f16_e32 v2, v91, v2
	s_delay_alu instid0(VALU_DEP_2) | instskip(NEXT) | instid1(VALU_DEP_2)
	v_fma_f16 v1, v91, v134, -v1
	v_fmac_f16_e64 v2, v0, v134
	v_lshrrev_b32_e32 v91, 17, v60
	s_delay_alu instid0(VALU_DEP_3) | instskip(SKIP_1) | instid1(VALU_DEP_2)
	v_sub_f16_e32 v0, v27, v1
	v_lshrrev_b32_e32 v1, 16, v27
	v_fma_f16 v3, v27, 2.0, -v0
	s_delay_alu instid0(VALU_DEP_2) | instskip(NEXT) | instid1(VALU_DEP_1)
	v_sub_f16_e32 v2, v1, v2
	v_fma_f16 v1, v1, 2.0, -v2
	v_pack_b32_f16 v0, v0, v2
	v_and_b32_e32 v2, 0xffff, v4
	s_delay_alu instid0(VALU_DEP_3) | instskip(NEXT) | instid1(VALU_DEP_2)
	v_pack_b32_f16 v1, v3, v1
	v_lshlrev_b32_e32 v2, 2, v2
	ds_store_2addr_b32 v2, v1, v0 offset1:60
	v_add_co_u32 v0, s4, 0xffffff88, v241
	s_delay_alu instid0(VALU_DEP_1) | instskip(NEXT) | instid1(VALU_DEP_2)
	v_add_co_ci_u32_e64 v1, null, 0, -1, s4
	v_cndmask_b32_e32 v27, v0, v241, vcc_lo
	s_delay_alu instid0(VALU_DEP_2) | instskip(NEXT) | instid1(VALU_DEP_1)
	v_cndmask_b32_e64 v28, v1, 0, vcc_lo
	v_lshlrev_b64 v[64:65], 2, v[27:28]
	v_mul_lo_u16 v28, 0x78, v91
	s_delay_alu instid0(VALU_DEP_2) | instskip(NEXT) | instid1(VALU_DEP_3)
	v_add_co_u32 v64, vcc_lo, s6, v64
	v_add_co_ci_u32_e32 v65, vcc_lo, s7, v65, vcc_lo
	v_cmp_lt_u32_e32 vcc_lo, 0x77, v241
	s_delay_alu instid0(VALU_DEP_4) | instskip(SKIP_2) | instid1(VALU_DEP_2)
	v_sub_nc_u16 v92, v48, v28
	v_mul_lo_u16 v28, 0x78, v93
	v_cndmask_b32_e64 v0, 0, 0xf0, vcc_lo
	v_sub_nc_u16 v94, v50, v28
	s_delay_alu instid0(VALU_DEP_4) | instskip(NEXT) | instid1(VALU_DEP_3)
	v_and_b32_e32 v28, 0xffff, v92
	v_add_lshl_u32 v121, v27, v0, 2
	scratch_store_b32 off, v2, off offset:240 ; 4-byte Folded Spill
	v_lshrrev_b16 v2, 14, v23
	v_mul_u32_u24_e32 v0, 0x223, v49
	v_lshlrev_b32_e32 v28, 2, v28
	scratch_store_b32 off, v121, off offset:244 ; 4-byte Folded Spill
	s_waitcnt lgkmcnt(0)
	s_waitcnt_vscnt null, 0x0
	s_barrier
	buffer_gl0_inv
	global_load_b32 v230, v[64:65], off offset:440
	v_mul_lo_u16 v3, 0x78, v2
	v_lshrrev_b32_e32 v0, 16, v0
	v_and_b32_e32 v2, 0xffff, v2
	s_delay_alu instid0(VALU_DEP_3) | instskip(NEXT) | instid1(VALU_DEP_3)
	v_sub_nc_u16 v3, v22, v3
	v_mul_lo_u16 v1, 0x78, v0
	s_delay_alu instid0(VALU_DEP_3) | instskip(NEXT) | instid1(VALU_DEP_3)
	v_mul_u32_u24_e32 v2, 0xf0, v2
	v_and_b32_e32 v3, 0xff, v3
	s_delay_alu instid0(VALU_DEP_3) | instskip(SKIP_1) | instid1(VALU_DEP_3)
	v_sub_nc_u16 v1, v49, v1
	v_mul_u32_u24_e32 v49, 0x223, v24
	v_lshlrev_b32_e32 v4, 2, v3
	s_delay_alu instid0(VALU_DEP_3)
	v_and_b32_e32 v25, 0xffff, v1
	v_mad_u16 v0, 0xf0, v0, v1
	global_load_b32 v222, v4, s[6:7] offset:440
	v_lshlrev_b32_e32 v25, 2, v25
	v_and_b32_e32 v0, 0xffff, v0
	global_load_b32 v224, v25, s[6:7] offset:440
	v_lshrrev_b32_e32 v4, 16, v49
	v_mul_lo_u16 v64, 0x78, v95
	v_and_b32_e32 v25, 0xffff, v94
	v_lshlrev_b32_e32 v0, 2, v0
	s_delay_alu instid0(VALU_DEP_4) | instskip(NEXT) | instid1(VALU_DEP_4)
	v_mul_lo_u16 v23, 0x78, v4
	v_sub_nc_u16 v96, v62, v64
	v_mul_lo_u16 v64, 0x78, v97
	v_lshlrev_b32_e32 v25, 2, v25
	s_delay_alu instid0(VALU_DEP_4) | instskip(NEXT) | instid1(VALU_DEP_3)
	v_sub_nc_u16 v23, v24, v23
	v_sub_nc_u16 v98, v26, v64
	v_and_b32_e32 v64, 0xffff, v96
	s_delay_alu instid0(VALU_DEP_3) | instskip(SKIP_1) | instid1(VALU_DEP_4)
	v_and_b32_e32 v27, 0xffff, v23
	v_mad_u16 v4, 0xf0, v4, v23
	v_and_b32_e32 v65, 0xffff, v98
	s_delay_alu instid0(VALU_DEP_4) | instskip(NEXT) | instid1(VALU_DEP_4)
	v_lshlrev_b32_e32 v64, 2, v64
	v_lshlrev_b32_e32 v27, 2, v27
	s_delay_alu instid0(VALU_DEP_3)
	v_lshlrev_b32_e32 v65, 2, v65
	s_clause 0x4
	global_load_b32 v225, v27, s[6:7] offset:440
	global_load_b32 v221, v28, s[6:7] offset:440
	;; [unrolled: 1-line block ×5, first 2 shown]
	ds_load_2addr_stride64_b32 v[64:65], v58 offset0:28 offset1:30
	ds_load_2addr_stride64_b32 v[27:28], v58 offset1:2
	s_waitcnt lgkmcnt(1)
	v_lshrrev_b32_e32 v25, 16, v65
	s_waitcnt vmcnt(7)
	v_lshrrev_b32_e32 v191, 16, v230
	s_delay_alu instid0(VALU_DEP_1) | instskip(NEXT) | instid1(VALU_DEP_1)
	v_mul_f16_e64 v66, v65, v191
	v_fmac_f16_e64 v66, v25, v230
	v_mul_f16_e64 v25, v25, v191
	s_delay_alu instid0(VALU_DEP_1) | instskip(SKIP_2) | instid1(VALU_DEP_2)
	v_fma_f16 v25, v65, v230, -v25
	s_waitcnt lgkmcnt(0)
	v_lshrrev_b32_e32 v65, 16, v27
	v_sub_f16_e32 v25, v27, v25
	s_delay_alu instid0(VALU_DEP_2) | instskip(NEXT) | instid1(VALU_DEP_2)
	v_sub_f16_e32 v66, v65, v66
	v_fma_f16 v27, v27, 2.0, -v25
	s_delay_alu instid0(VALU_DEP_2) | instskip(SKIP_2) | instid1(VALU_DEP_3)
	v_fma_f16 v65, v65, 2.0, -v66
	v_pack_b32_f16 v25, v25, v66
	v_mul_lo_u16 v66, 0x78, v101
	v_pack_b32_f16 v27, v27, v65
	v_mul_lo_u16 v65, 0x78, v99
	s_delay_alu instid0(VALU_DEP_3) | instskip(SKIP_1) | instid1(VALU_DEP_3)
	v_sub_nc_u16 v102, v43, v66
	v_mul_lo_u16 v66, 0x78, v104
	v_sub_nc_u16 v100, v44, v65
	s_delay_alu instid0(VALU_DEP_2) | instskip(NEXT) | instid1(VALU_DEP_4)
	v_sub_nc_u16 v105, v46, v66
	v_and_b32_e32 v66, 0xffff, v102
	s_delay_alu instid0(VALU_DEP_3) | instskip(NEXT) | instid1(VALU_DEP_3)
	v_and_b32_e32 v65, 0xffff, v100
	v_and_b32_e32 v67, 0xffff, v105
	s_delay_alu instid0(VALU_DEP_3) | instskip(NEXT) | instid1(VALU_DEP_3)
	v_lshlrev_b32_e32 v66, 2, v66
	v_lshlrev_b32_e32 v65, 2, v65
	s_delay_alu instid0(VALU_DEP_3)
	v_lshlrev_b32_e32 v67, 2, v67
	s_clause 0x6
	global_load_b32 v223, v65, s[6:7] offset:440
	global_load_b32 v220, v66, s[6:7] offset:440
	;; [unrolled: 1-line block ×7, first 2 shown]
	ds_load_2addr_stride64_b32 v[65:66], v58 offset0:32 offset1:34
	ds_load_2addr_stride64_b32 v[67:68], v58 offset0:4 offset1:6
	;; [unrolled: 1-line block ×13, first 2 shown]
	s_waitcnt vmcnt(0) lgkmcnt(0)
	s_barrier
	buffer_gl0_inv
	ds_store_2addr_b32 v121, v27, v25 offset1:120
	v_lshrrev_b32_e32 v121, 16, v222
	scratch_store_b32 off, v0, off offset:252 ; 4-byte Folded Spill
	v_lshrrev_b32_e32 v243, 16, v217
	v_lshrrev_b32_e32 v25, 16, v65
	;; [unrolled: 1-line block ×3, first 2 shown]
	v_mul_f16_e32 v27, v65, v121
	v_lshrrev_b32_e32 v245, 16, v215
	s_delay_alu instid0(VALU_DEP_2) | instskip(SKIP_2) | instid1(VALU_DEP_2)
	v_fmac_f16_e64 v27, v25, v222
	v_mul_f16_e32 v25, v25, v121
	v_add_lshl_u32 v121, v2, v3, 2
	v_fma_f16 v25, v65, v222, -v25
	v_lshrrev_b32_e32 v65, 16, v28
	scratch_store_b32 off, v121, off offset:248 ; 4-byte Folded Spill
	v_sub_f16_e32 v25, v28, v25
	v_sub_f16_e32 v2, v65, v27
	s_delay_alu instid0(VALU_DEP_2) | instskip(NEXT) | instid1(VALU_DEP_2)
	v_fma_f16 v28, v28, 2.0, -v25
	v_fma_f16 v3, v65, 2.0, -v2
	v_pack_b32_f16 v2, v25, v2
	v_lshrrev_b32_e32 v25, 16, v224
	s_delay_alu instid0(VALU_DEP_3) | instskip(SKIP_2) | instid1(VALU_DEP_1)
	v_pack_b32_f16 v3, v28, v3
	ds_store_2addr_b32 v121, v3, v2 offset1:120
	v_lshrrev_b32_e32 v2, 16, v66
	v_mul_f16_e32 v3, v2, v25
	v_mul_f16_e32 v25, v66, v25
	s_delay_alu instid0(VALU_DEP_2) | instskip(NEXT) | instid1(VALU_DEP_2)
	v_fma_f16 v3, v66, v224, -v3
	v_fmac_f16_e64 v25, v2, v224
	s_delay_alu instid0(VALU_DEP_2) | instskip(NEXT) | instid1(VALU_DEP_2)
	v_sub_f16_e32 v3, v67, v3
	v_sub_f16_e32 v2, v1, v25
	s_delay_alu instid0(VALU_DEP_2) | instskip(NEXT) | instid1(VALU_DEP_2)
	v_fma_f16 v25, v67, 2.0, -v3
	v_fma_f16 v1, v1, 2.0, -v2
	v_pack_b32_f16 v2, v3, v2
	s_delay_alu instid0(VALU_DEP_2)
	v_pack_b32_f16 v1, v25, v1
	v_mov_b32_e32 v25, 0
	ds_store_2addr_b32 v0, v1, v2 offset1:120
	v_lshrrev_b32_e32 v2, 16, v225
	v_lshrrev_b32_e32 v0, 16, v69
	v_mov_b32_e32 v23, v25
	s_delay_alu instid0(VALU_DEP_3) | instskip(NEXT) | instid1(VALU_DEP_2)
	v_mul_f16_e32 v1, v69, v2
	v_cmp_gt_u64_e32 vcc_lo, 0xf0, v[22:23]
	s_delay_alu instid0(VALU_DEP_2) | instskip(SKIP_2) | instid1(VALU_DEP_2)
	v_fmac_f16_e64 v1, v0, v225
	v_mul_f16_e32 v0, v0, v2
	v_lshrrev_b32_e32 v2, 16, v68
	v_fma_f16 v0, v69, v225, -v0
	s_delay_alu instid0(VALU_DEP_2) | instskip(NEXT) | instid1(VALU_DEP_2)
	v_sub_f16_e32 v1, v2, v1
	v_sub_f16_e32 v0, v68, v0
	s_delay_alu instid0(VALU_DEP_2) | instskip(NEXT) | instid1(VALU_DEP_2)
	v_fma_f16 v2, v2, 2.0, -v1
	v_fma_f16 v3, v68, 2.0, -v0
	v_pack_b32_f16 v0, v0, v1
	v_and_b32_e32 v1, 0xffff, v4
	s_delay_alu instid0(VALU_DEP_3) | instskip(SKIP_1) | instid1(VALU_DEP_3)
	v_pack_b32_f16 v2, v3, v2
	v_lshrrev_b32_e32 v3, 16, v71
	v_lshlrev_b32_e32 v1, 2, v1
	ds_store_2addr_b32 v1, v2, v0 offset1:120
	v_lshrrev_b32_e32 v0, 16, v70
	v_lshrrev_b32_e32 v2, 16, v221
	scratch_store_b32 off, v1, off offset:256 ; 4-byte Folded Spill
	v_mul_f16_e32 v1, v0, v2
	v_mul_f16_e32 v2, v70, v2
	s_delay_alu instid0(VALU_DEP_2) | instskip(NEXT) | instid1(VALU_DEP_2)
	v_fma_f16 v1, v70, v221, -v1
	v_fmac_f16_e64 v2, v0, v221
	v_mad_u16 v0, 0xf0, v91, v92
	s_delay_alu instid0(VALU_DEP_3) | instskip(NEXT) | instid1(VALU_DEP_3)
	v_sub_f16_e32 v1, v71, v1
	v_sub_f16_e32 v2, v3, v2
	s_delay_alu instid0(VALU_DEP_3) | instskip(NEXT) | instid1(VALU_DEP_3)
	v_and_b32_e32 v0, 0xffff, v0
	v_fma_f16 v4, v71, 2.0, -v1
	s_delay_alu instid0(VALU_DEP_3) | instskip(SKIP_1) | instid1(VALU_DEP_4)
	v_fma_f16 v3, v3, 2.0, -v2
	v_pack_b32_f16 v1, v1, v2
	v_lshlrev_b32_e32 v0, 2, v0
	v_lshrrev_b32_e32 v2, 16, v219
	s_delay_alu instid0(VALU_DEP_4)
	v_pack_b32_f16 v3, v4, v3
	v_mad_u16 v4, 0xf0, v93, v94
	scratch_store_b32 off, v0, off offset:260 ; 4-byte Folded Spill
	ds_store_2addr_b32 v0, v3, v1 offset1:120
	v_lshrrev_b32_e32 v0, 16, v73
	v_mul_f16_e32 v1, v73, v2
	s_delay_alu instid0(VALU_DEP_1) | instskip(SKIP_2) | instid1(VALU_DEP_2)
	v_fmac_f16_e64 v1, v0, v219
	v_mul_f16_e32 v0, v0, v2
	v_lshrrev_b32_e32 v2, 16, v72
	v_fma_f16 v0, v73, v219, -v0
	s_delay_alu instid0(VALU_DEP_2) | instskip(NEXT) | instid1(VALU_DEP_2)
	v_sub_f16_e32 v1, v2, v1
	v_sub_f16_e32 v0, v72, v0
	s_delay_alu instid0(VALU_DEP_2) | instskip(NEXT) | instid1(VALU_DEP_2)
	v_fma_f16 v2, v2, 2.0, -v1
	v_fma_f16 v3, v72, 2.0, -v0
	v_pack_b32_f16 v0, v0, v1
	v_and_b32_e32 v1, 0xffff, v4
	s_delay_alu instid0(VALU_DEP_3) | instskip(SKIP_1) | instid1(VALU_DEP_3)
	v_pack_b32_f16 v2, v3, v2
	v_lshrrev_b32_e32 v3, 16, v75
	v_lshlrev_b32_e32 v1, 2, v1
	ds_store_2addr_b32 v1, v2, v0 offset1:120
	v_lshrrev_b32_e32 v0, 16, v74
	scratch_store_b32 off, v1, off offset:264 ; 4-byte Folded Spill
	v_mul_f16_e64 v2, v74, v243
	v_mul_f16_e64 v1, v0, v243
	s_delay_alu instid0(VALU_DEP_2) | instskip(SKIP_1) | instid1(VALU_DEP_3)
	v_fmac_f16_e64 v2, v0, v217
	v_mad_u16 v0, 0xf0, v95, v96
	v_fma_f16 v1, v74, v217, -v1
	s_delay_alu instid0(VALU_DEP_3) | instskip(NEXT) | instid1(VALU_DEP_3)
	v_sub_f16_e32 v2, v3, v2
	v_and_b32_e32 v0, 0xffff, v0
	s_delay_alu instid0(VALU_DEP_3) | instskip(NEXT) | instid1(VALU_DEP_3)
	v_sub_f16_e32 v1, v75, v1
	v_fma_f16 v3, v3, 2.0, -v2
	s_delay_alu instid0(VALU_DEP_3) | instskip(NEXT) | instid1(VALU_DEP_3)
	v_lshlrev_b32_e32 v0, 2, v0
	v_fma_f16 v4, v75, 2.0, -v1
	v_pack_b32_f16 v1, v1, v2
	v_lshrrev_b32_e32 v2, 16, v76
	scratch_store_b32 off, v0, off offset:268 ; 4-byte Folded Spill
	v_pack_b32_f16 v3, v4, v3
	v_mad_u16 v4, 0xf0, v97, v98
	ds_store_2addr_b32 v0, v3, v1 offset1:120
	v_lshrrev_b32_e32 v0, 16, v77
	v_mul_f16_e64 v1, v77, v245
	s_delay_alu instid0(VALU_DEP_1) | instskip(SKIP_1) | instid1(VALU_DEP_2)
	v_fmac_f16_e64 v1, v0, v215
	v_mul_f16_e64 v0, v0, v245
	v_sub_f16_e32 v1, v2, v1
	s_delay_alu instid0(VALU_DEP_2) | instskip(NEXT) | instid1(VALU_DEP_2)
	v_fma_f16 v0, v77, v215, -v0
	v_fma_f16 v2, v2, 2.0, -v1
	s_delay_alu instid0(VALU_DEP_2) | instskip(NEXT) | instid1(VALU_DEP_1)
	v_sub_f16_e32 v0, v76, v0
	v_fma_f16 v3, v76, 2.0, -v0
	v_pack_b32_f16 v0, v0, v1
	v_and_b32_e32 v1, 0xffff, v4
	s_delay_alu instid0(VALU_DEP_3) | instskip(SKIP_1) | instid1(VALU_DEP_3)
	v_pack_b32_f16 v2, v3, v2
	v_lshrrev_b32_e32 v3, 16, v79
	v_lshlrev_b32_e32 v1, 2, v1
	ds_store_2addr_b32 v1, v2, v0 offset1:120
	v_lshrrev_b32_e32 v0, 16, v78
	scratch_store_b32 off, v1, off offset:272 ; 4-byte Folded Spill
	v_lshrrev_b32_e32 v247, 16, v223
	v_lshrrev_b32_e32 v249, 16, v220
	;; [unrolled: 1-line block ×5, first 2 shown]
	v_mul_f16_e64 v1, v0, v247
	v_mul_f16_e64 v2, v78, v247
	v_lshrrev_b32_e32 v193, 16, v213
	v_lshrrev_b32_e32 v188, 16, v211
	s_delay_alu instid0(VALU_DEP_4) | instskip(NEXT) | instid1(VALU_DEP_4)
	v_fma_f16 v1, v78, v223, -v1
	v_fmac_f16_e64 v2, v0, v223
	v_mad_u16 v0, 0xf0, v99, v100
	s_delay_alu instid0(VALU_DEP_3) | instskip(NEXT) | instid1(VALU_DEP_3)
	v_sub_f16_e32 v1, v79, v1
	v_sub_f16_e32 v2, v3, v2
	s_delay_alu instid0(VALU_DEP_3) | instskip(NEXT) | instid1(VALU_DEP_3)
	v_and_b32_e32 v0, 0xffff, v0
	v_fma_f16 v4, v79, 2.0, -v1
	s_delay_alu instid0(VALU_DEP_3) | instskip(SKIP_1) | instid1(VALU_DEP_4)
	v_fma_f16 v3, v3, 2.0, -v2
	v_pack_b32_f16 v1, v1, v2
	v_lshlrev_b32_e32 v0, 2, v0
	v_lshrrev_b32_e32 v2, 16, v80
	s_delay_alu instid0(VALU_DEP_4)
	v_pack_b32_f16 v3, v4, v3
	v_mad_u16 v4, 0xf0, v101, v102
	scratch_store_b32 off, v0, off offset:276 ; 4-byte Folded Spill
	v_lshrrev_b32_e32 v102, 19, v57
	ds_store_2addr_b32 v0, v3, v1 offset1:120
	v_lshrrev_b32_e32 v0, 16, v81
	v_mul_f16_e64 v1, v81, v249
	v_mul_lo_u16 v69, 0xf0, v102
	s_delay_alu instid0(VALU_DEP_2) | instskip(SKIP_1) | instid1(VALU_DEP_2)
	v_fmac_f16_e64 v1, v0, v220
	v_mul_f16_e64 v0, v0, v249
	v_sub_f16_e32 v1, v2, v1
	s_delay_alu instid0(VALU_DEP_2) | instskip(NEXT) | instid1(VALU_DEP_2)
	v_fma_f16 v0, v81, v220, -v0
	v_fma_f16 v2, v2, 2.0, -v1
	s_delay_alu instid0(VALU_DEP_2) | instskip(NEXT) | instid1(VALU_DEP_1)
	v_sub_f16_e32 v0, v80, v0
	v_fma_f16 v3, v80, 2.0, -v0
	v_pack_b32_f16 v0, v0, v1
	v_and_b32_e32 v1, 0xffff, v4
	s_delay_alu instid0(VALU_DEP_3) | instskip(SKIP_1) | instid1(VALU_DEP_3)
	v_pack_b32_f16 v2, v3, v2
	v_lshrrev_b32_e32 v3, 16, v83
	v_lshlrev_b32_e32 v1, 2, v1
	ds_store_2addr_b32 v1, v2, v0 offset1:120
	v_lshrrev_b32_e32 v0, 16, v82
	scratch_store_b32 off, v1, off offset:280 ; 4-byte Folded Spill
	v_mul_f16_e64 v2, v82, v252
	v_mul_f16_e64 v1, v0, v252
	s_delay_alu instid0(VALU_DEP_2) | instskip(SKIP_1) | instid1(VALU_DEP_3)
	v_fmac_f16_e64 v2, v0, v218
	v_mad_u16 v0, 0xf0, v104, v105
	v_fma_f16 v1, v82, v218, -v1
	s_delay_alu instid0(VALU_DEP_3) | instskip(NEXT) | instid1(VALU_DEP_3)
	v_sub_f16_e32 v2, v3, v2
	v_and_b32_e32 v0, 0xffff, v0
	s_delay_alu instid0(VALU_DEP_3) | instskip(NEXT) | instid1(VALU_DEP_3)
	v_sub_f16_e32 v1, v83, v1
	v_fma_f16 v3, v3, 2.0, -v2
	s_delay_alu instid0(VALU_DEP_3) | instskip(NEXT) | instid1(VALU_DEP_3)
	v_lshlrev_b32_e32 v0, 2, v0
	v_fma_f16 v4, v83, 2.0, -v1
	v_pack_b32_f16 v1, v1, v2
	v_lshrrev_b32_e32 v2, 16, v84
	scratch_store_b32 off, v0, off offset:284 ; 4-byte Folded Spill
	v_pack_b32_f16 v3, v4, v3
	v_mad_u16 v4, 0xf0, v106, v107
	v_sub_nc_u16 v106, v43, v69
	ds_store_2addr_b32 v0, v3, v1 offset1:120
	v_lshrrev_b32_e32 v0, 16, v85
	v_mul_f16_e64 v1, v85, v254
	s_delay_alu instid0(VALU_DEP_1) | instskip(SKIP_1) | instid1(VALU_DEP_2)
	v_fmac_f16_e64 v1, v0, v216
	v_mul_f16_e64 v0, v0, v254
	v_sub_f16_e32 v1, v2, v1
	s_delay_alu instid0(VALU_DEP_2) | instskip(NEXT) | instid1(VALU_DEP_2)
	v_fma_f16 v0, v85, v216, -v0
	v_fma_f16 v2, v2, 2.0, -v1
	s_delay_alu instid0(VALU_DEP_2) | instskip(NEXT) | instid1(VALU_DEP_1)
	v_sub_f16_e32 v0, v84, v0
	v_fma_f16 v3, v84, 2.0, -v0
	v_pack_b32_f16 v0, v0, v1
	v_and_b32_e32 v1, 0xffff, v4
	s_delay_alu instid0(VALU_DEP_3) | instskip(SKIP_1) | instid1(VALU_DEP_3)
	v_pack_b32_f16 v2, v3, v2
	v_lshrrev_b32_e32 v3, 16, v87
	v_lshlrev_b32_e32 v1, 2, v1
	ds_store_2addr_b32 v1, v2, v0 offset1:120
	v_lshrrev_b32_e32 v0, 16, v86
	scratch_store_b32 off, v1, off offset:288 ; 4-byte Folded Spill
	v_mul_f16_e64 v2, v86, v195
	v_mul_f16_e64 v1, v0, v195
	s_delay_alu instid0(VALU_DEP_2) | instskip(SKIP_2) | instid1(VALU_DEP_4)
	v_fmac_f16_e64 v2, v0, v214
	v_mad_u16 v0, 0xf0, v108, v109
	v_lshrrev_b32_e32 v108, 19, v55
	v_fma_f16 v1, v86, v214, -v1
	s_delay_alu instid0(VALU_DEP_4) | instskip(NEXT) | instid1(VALU_DEP_4)
	v_sub_f16_e32 v2, v3, v2
	v_and_b32_e32 v0, 0xffff, v0
	s_delay_alu instid0(VALU_DEP_4) | instskip(NEXT) | instid1(VALU_DEP_4)
	v_mul_lo_u16 v69, 0xf0, v108
	v_sub_f16_e32 v1, v87, v1
	s_delay_alu instid0(VALU_DEP_4) | instskip(NEXT) | instid1(VALU_DEP_4)
	v_fma_f16 v3, v3, 2.0, -v2
	v_lshlrev_b32_e32 v0, 2, v0
	s_delay_alu instid0(VALU_DEP_4) | instskip(NEXT) | instid1(VALU_DEP_4)
	v_sub_nc_u16 v109, v47, v69
	v_fma_f16 v4, v87, 2.0, -v1
	v_pack_b32_f16 v1, v1, v2
	v_lshrrev_b32_e32 v2, 16, v88
	scratch_store_b32 off, v0, off offset:292 ; 4-byte Folded Spill
	v_lshrrev_b32_e32 v69, 19, v52
	v_pack_b32_f16 v3, v4, v3
	v_mad_u16 v4, 0xf0, v110, v111
	v_lshrrev_b32_e32 v110, 19, v53
	s_delay_alu instid0(VALU_DEP_4)
	v_mul_lo_u16 v69, 0xf0, v69
	ds_store_2addr_b32 v0, v3, v1 offset1:120
	v_lshrrev_b32_e32 v0, 16, v89
	v_mul_f16_e64 v1, v89, v193
	v_mul_lo_u16 v71, 0xf0, v110
	v_sub_nc_u16 v69, v45, v69
	s_delay_alu instid0(VALU_DEP_3) | instskip(SKIP_1) | instid1(VALU_DEP_4)
	v_fmac_f16_e64 v1, v0, v213
	v_mul_f16_e64 v0, v0, v193
	v_sub_nc_u16 v111, v42, v71
	v_and_b32_e32 v71, 0xffff, v109
	v_and_b32_e32 v69, 0xffff, v69
	v_sub_f16_e32 v1, v2, v1
	v_fma_f16 v0, v89, v213, -v0
	v_and_b32_e32 v76, 0xffff, v111
	v_lshlrev_b32_e32 v71, 2, v71
	s_delay_alu instid0(VALU_DEP_4) | instskip(NEXT) | instid1(VALU_DEP_4)
	v_fma_f16 v2, v2, 2.0, -v1
	v_sub_f16_e32 v0, v88, v0
	s_delay_alu instid0(VALU_DEP_4) | instskip(NEXT) | instid1(VALU_DEP_2)
	v_lshlrev_b32_e32 v77, 2, v76
	v_fma_f16 v3, v88, 2.0, -v0
	v_pack_b32_f16 v0, v0, v1
	v_and_b32_e32 v1, 0xffff, v4
	v_mad_u16 v4, 0xf0, v112, v117
	v_lshlrev_b32_e32 v117, 2, v69
	v_pack_b32_f16 v2, v3, v2
	s_delay_alu instid0(VALU_DEP_4)
	v_lshlrev_b32_e32 v1, 2, v1
	ds_store_2addr_b32 v1, v2, v0 offset1:120
	v_add_co_u32 v0, s4, 0xffffff90, v241
	scratch_store_b32 off, v1, off offset:296 ; 4-byte Folded Spill
	v_add_co_ci_u32_e64 v1, null, 0, -1, s4
	v_cndmask_b32_e32 v27, v0, v22, vcc_lo
	v_lshrrev_b32_e32 v0, 16, v90
	v_mul_f16_e64 v2, v90, v188
	s_delay_alu instid0(VALU_DEP_4) | instskip(NEXT) | instid1(VALU_DEP_3)
	v_cndmask_b32_e64 v28, v1, 0, vcc_lo
	v_mul_f16_e64 v1, v0, v188
	s_delay_alu instid0(VALU_DEP_3) | instskip(NEXT) | instid1(VALU_DEP_3)
	v_fmac_f16_e64 v2, v0, v211
	v_lshlrev_b64 v[65:66], 2, v[27:28]
	s_delay_alu instid0(VALU_DEP_3) | instskip(NEXT) | instid1(VALU_DEP_2)
	v_fma_f16 v1, v90, v211, -v1
	v_add_co_u32 v65, vcc_lo, s6, v65
	s_delay_alu instid0(VALU_DEP_2) | instskip(SKIP_3) | instid1(VALU_DEP_4)
	v_sub_f16_e32 v0, v64, v1
	v_lshrrev_b32_e32 v1, 16, v64
	v_add_co_ci_u32_e32 v66, vcc_lo, s7, v66, vcc_lo
	v_cmp_lt_u64_e32 vcc_lo, 0xef, v[22:23]
	v_fma_f16 v3, v64, 2.0, -v0
	s_delay_alu instid0(VALU_DEP_4) | instskip(SKIP_1) | instid1(VALU_DEP_2)
	v_sub_f16_e32 v2, v1, v2
	v_cndmask_b32_e64 v22, 0, 0x1e0, vcc_lo
	v_fma_f16 v1, v1, 2.0, -v2
	v_pack_b32_f16 v0, v0, v2
	v_and_b32_e32 v2, 0xffff, v4
	v_lshrrev_b32_e32 v4, 17, v49
	v_cmp_gt_u64_e32 vcc_lo, 0x1e0, v[24:25]
	v_pack_b32_f16 v1, v3, v1
	v_lshrrev_b32_e32 v3, 18, v63
	v_lshlrev_b32_e32 v2, 2, v2
	v_mul_lo_u16 v28, 0xf0, v4
	s_delay_alu instid0(VALU_DEP_3)
	v_mul_lo_u16 v3, 0xf0, v3
	ds_store_2addr_b32 v2, v1, v0 offset1:120
	v_lshrrev_b32_e32 v0, 18, v60
	v_sub_nc_u16 v28, v24, v28
	v_lshrrev_b32_e32 v1, 18, v61
	v_sub_nc_u16 v3, v62, v3
	scratch_store_b32 off, v2, off offset:300 ; 4-byte Folded Spill
	v_mul_lo_u16 v0, 0xf0, v0
	s_waitcnt lgkmcnt(0)
	s_waitcnt_vscnt null, 0x0
	v_mul_lo_u16 v2, 0xf0, v1
	v_and_b32_e32 v3, 0xffff, v3
	s_barrier
	v_sub_nc_u16 v0, v48, v0
	v_and_b32_e32 v48, 0xffff, v28
	v_sub_nc_u16 v2, v50, v2
	v_lshlrev_b32_e32 v3, 2, v3
	buffer_gl0_inv
	v_and_b32_e32 v0, 0xffff, v0
	v_lshlrev_b32_e32 v48, 2, v48
	global_load_b32 v75, v[65:66], off offset:920
	v_lshrrev_b32_e32 v66, 18, v51
	v_lshrrev_b32_e32 v65, 19, v56
	v_lshlrev_b32_e32 v0, 2, v0
	s_clause 0x4
	global_load_b32 v72, v48, s[6:7] offset:920
	global_load_b32 v50, v58, s[6:7] offset:920
	;; [unrolled: 1-line block ×5, first 2 shown]
	ds_load_2addr_stride64_b32 v[48:49], v58 offset0:28 offset1:30
	v_mul_lo_u16 v65, 0xf0, v65
	v_mad_u16 v4, 0x1e0, v4, v28
	v_add_nc_u32_e32 v0, 0xf00, v0
	v_mad_u16 v1, 0x1e0, v1, v2
	s_delay_alu instid0(VALU_DEP_3) | instskip(NEXT) | instid1(VALU_DEP_2)
	v_and_b32_e32 v4, 0xffff, v4
	v_and_b32_e32 v1, 0xffff, v1
	s_delay_alu instid0(VALU_DEP_2) | instskip(NEXT) | instid1(VALU_DEP_2)
	v_lshlrev_b32_e32 v4, 2, v4
	v_lshlrev_b32_e32 v1, 2, v1
	s_waitcnt lgkmcnt(0)
	v_lshrrev_b32_e32 v60, 16, v49
	s_waitcnt vmcnt(5)
	v_lshrrev_b32_e32 v166, 16, v75
	s_waitcnt vmcnt(4)
	v_lshrrev_b32_e32 v162, 16, v72
	s_waitcnt vmcnt(3)
	v_lshrrev_b32_e32 v121, 16, v50
	s_waitcnt vmcnt(2)
	v_lshrrev_b32_e32 v158, 16, v73
	s_waitcnt vmcnt(1)
	v_lshrrev_b32_e32 v161, 16, v68
	s_waitcnt vmcnt(0)
	v_lshrrev_b32_e32 v163, 16, v64
	v_mul_f16_e32 v62, v49, v121
	s_delay_alu instid0(VALU_DEP_1) | instskip(SKIP_1) | instid1(VALU_DEP_1)
	v_fmac_f16_e32 v62, v60, v50
	v_mul_f16_e32 v60, v60, v121
	v_fma_f16 v49, v49, v50, -v60
	ds_load_2addr_stride64_b32 v[60:61], v58 offset1:2
	s_waitcnt lgkmcnt(0)
	v_lshrrev_b32_e32 v63, 16, v60
	v_sub_f16_e32 v49, v60, v49
	s_delay_alu instid0(VALU_DEP_2) | instskip(NEXT) | instid1(VALU_DEP_2)
	v_sub_f16_e32 v62, v63, v62
	v_fma_f16 v60, v60, 2.0, -v49
	s_delay_alu instid0(VALU_DEP_2) | instskip(SKIP_2) | instid1(VALU_DEP_3)
	v_fma_f16 v63, v63, 2.0, -v62
	v_pack_b32_f16 v49, v49, v62
	v_and_b32_e32 v62, 0xffff, v2
	v_pack_b32_f16 v60, v60, v63
	v_mul_lo_u16 v63, 0xf0, v66
	s_delay_alu instid0(VALU_DEP_3) | instskip(NEXT) | instid1(VALU_DEP_2)
	v_lshlrev_b32_e32 v62, 2, v62
	v_sub_nc_u16 v74, v26, v63
	global_load_b32 v67, v62, s[6:7] offset:920
	v_and_b32_e32 v63, 0xffff, v74
	s_delay_alu instid0(VALU_DEP_1) | instskip(SKIP_3) | instid1(VALU_DEP_2)
	v_lshlrev_b32_e32 v63, 2, v63
	global_load_b32 v70, v63, s[6:7] offset:920
	v_lshrrev_b32_e32 v62, 19, v59
	v_and_b32_e32 v63, 0xffff, v106
	v_mul_lo_u16 v62, 0xf0, v62
	s_delay_alu instid0(VALU_DEP_2) | instskip(NEXT) | instid1(VALU_DEP_2)
	v_lshlrev_b32_e32 v63, 2, v63
	v_sub_nc_u16 v62, v44, v62
	s_delay_alu instid0(VALU_DEP_1) | instskip(NEXT) | instid1(VALU_DEP_1)
	v_and_b32_e32 v62, 0xffff, v62
	v_lshlrev_b32_e32 v107, 2, v62
	v_sub_nc_u16 v62, v46, v65
	v_lshrrev_b32_e32 v65, 19, v54
	s_delay_alu instid0(VALU_DEP_2) | instskip(NEXT) | instid1(VALU_DEP_2)
	v_and_b32_e32 v62, 0xffff, v62
	v_mul_lo_u16 v65, 0xf0, v65
	s_delay_alu instid0(VALU_DEP_2) | instskip(NEXT) | instid1(VALU_DEP_2)
	v_lshlrev_b32_e32 v112, 2, v62
	v_sub_nc_u16 v65, v21, v65
	s_delay_alu instid0(VALU_DEP_1) | instskip(NEXT) | instid1(VALU_DEP_1)
	v_and_b32_e32 v65, 0xffff, v65
	v_lshlrev_b32_e32 v125, 2, v65
	s_clause 0x6
	global_load_b32 v76, v71, s[6:7] offset:920
	global_load_b32 v69, v63, s[6:7] offset:920
	;; [unrolled: 1-line block ×7, first 2 shown]
	ds_load_2addr_stride64_b32 v[62:63], v58 offset0:32 offset1:34
	ds_load_2addr_stride64_b32 v[80:81], v58 offset0:4 offset1:6
	;; [unrolled: 1-line block ×13, first 2 shown]
	s_waitcnt vmcnt(0) lgkmcnt(0)
	s_barrier
	buffer_gl0_inv
	ds_store_2addr_b32 v58, v60, v49 offset1:240
	v_add_lshl_u32 v60, v22, v27, 2
	v_lshrrev_b32_e32 v27, 16, v61
	s_clause 0x2
	scratch_store_b32 off, v4, off offset:328
	scratch_store_b32 off, v0, off offset:332
	;; [unrolled: 1-line block ×3, first 2 shown]
	v_lshrrev_b32_e32 v22, 16, v62
	v_mul_f16_e64 v23, v62, v166
	s_delay_alu instid0(VALU_DEP_1) | instskip(SKIP_1) | instid1(VALU_DEP_2)
	v_fmac_f16_e32 v23, v22, v75
	v_mul_f16_e64 v22, v22, v166
	v_sub_f16_e32 v23, v27, v23
	s_delay_alu instid0(VALU_DEP_2) | instskip(NEXT) | instid1(VALU_DEP_2)
	v_fma_f16 v22, v62, v75, -v22
	v_fma_f16 v27, v27, 2.0, -v23
	s_delay_alu instid0(VALU_DEP_2) | instskip(NEXT) | instid1(VALU_DEP_1)
	v_sub_f16_e32 v22, v61, v22
	v_fma_f16 v49, v61, 2.0, -v22
	v_pack_b32_f16 v22, v22, v23
	s_delay_alu instid0(VALU_DEP_2) | instskip(SKIP_3) | instid1(VALU_DEP_2)
	v_pack_b32_f16 v27, v49, v27
	ds_store_2addr_b32 v60, v27, v22 offset1:240
	v_lshrrev_b32_e32 v22, 16, v63
	v_mul_f16_e64 v27, v63, v163
	v_mul_f16_e64 v23, v22, v163
	s_delay_alu instid0(VALU_DEP_2) | instskip(SKIP_1) | instid1(VALU_DEP_3)
	v_fmac_f16_e32 v27, v22, v64
	v_lshrrev_b32_e32 v22, 16, v80
	v_fma_f16 v23, v63, v64, -v23
	s_delay_alu instid0(VALU_DEP_2) | instskip(NEXT) | instid1(VALU_DEP_2)
	v_sub_f16_e32 v27, v22, v27
	v_sub_f16_e32 v23, v80, v23
	s_delay_alu instid0(VALU_DEP_2) | instskip(NEXT) | instid1(VALU_DEP_2)
	v_fma_f16 v22, v22, 2.0, -v27
	v_fma_f16 v49, v80, 2.0, -v23
	v_pack_b32_f16 v23, v23, v27
	v_add_nc_u32_e32 v27, 0x7c0, v58
	s_delay_alu instid0(VALU_DEP_3) | instskip(SKIP_4) | instid1(VALU_DEP_2)
	v_pack_b32_f16 v22, v49, v22
	ds_store_2addr_b32 v27, v22, v23 offset1:240
	v_lshrrev_b32_e32 v22, 16, v82
	v_mul_f16_e64 v23, v82, v162
	v_lshrrev_b32_e32 v27, 16, v81
	v_fmac_f16_e32 v23, v22, v72
	v_mul_f16_e64 v22, v22, v162
	s_delay_alu instid0(VALU_DEP_2) | instskip(NEXT) | instid1(VALU_DEP_2)
	v_sub_f16_e32 v23, v27, v23
	v_fma_f16 v22, v82, v72, -v22
	s_delay_alu instid0(VALU_DEP_2) | instskip(NEXT) | instid1(VALU_DEP_2)
	v_fma_f16 v27, v27, 2.0, -v23
	v_sub_f16_e32 v22, v81, v22
	s_delay_alu instid0(VALU_DEP_1) | instskip(SKIP_2) | instid1(VALU_DEP_3)
	v_fma_f16 v49, v81, 2.0, -v22
	v_pack_b32_f16 v22, v22, v23
	v_mul_f16_e64 v23, v83, v161
	v_pack_b32_f16 v27, v49, v27
	ds_store_2addr_b32 v4, v27, v22 offset1:240
	v_lshrrev_b32_e32 v4, 16, v83
	s_delay_alu instid0(VALU_DEP_1) | instskip(SKIP_2) | instid1(VALU_DEP_3)
	v_mul_f16_e64 v22, v4, v161
	v_fmac_f16_e32 v23, v4, v68
	v_lshrrev_b32_e32 v4, 16, v84
	v_fma_f16 v22, v83, v68, -v22
	s_delay_alu instid0(VALU_DEP_2) | instskip(NEXT) | instid1(VALU_DEP_2)
	v_sub_f16_e32 v23, v4, v23
	v_sub_f16_e32 v22, v84, v22
	s_delay_alu instid0(VALU_DEP_2) | instskip(NEXT) | instid1(VALU_DEP_2)
	v_fma_f16 v4, v4, 2.0, -v23
	v_fma_f16 v27, v84, 2.0, -v22
	v_pack_b32_f16 v22, v22, v23
	s_delay_alu instid0(VALU_DEP_2) | instskip(SKIP_4) | instid1(VALU_DEP_1)
	v_pack_b32_f16 v4, v27, v4
	ds_store_2addr_b32 v0, v4, v22 offset1:240
	v_lshrrev_b32_e32 v0, 16, v86
	v_lshrrev_b32_e32 v22, 16, v85
	;; [unrolled: 1-line block ×3, first 2 shown]
	v_mul_f16_e64 v4, v86, v160
	s_delay_alu instid0(VALU_DEP_1) | instskip(SKIP_2) | instid1(VALU_DEP_3)
	v_fmac_f16_e32 v4, v0, v67
	v_mul_f16_e64 v0, v0, v160
	v_lshrrev_b32_e32 v157, 16, v70
	v_sub_f16_e32 v2, v22, v4
	s_delay_alu instid0(VALU_DEP_3) | instskip(NEXT) | instid1(VALU_DEP_2)
	v_fma_f16 v0, v86, v67, -v0
	v_fma_f16 v4, v22, 2.0, -v2
	s_delay_alu instid0(VALU_DEP_2) | instskip(NEXT) | instid1(VALU_DEP_1)
	v_sub_f16_e32 v0, v85, v0
	v_fma_f16 v23, v85, 2.0, -v0
	v_pack_b32_f16 v0, v0, v2
	v_mul_f16_e64 v2, v87, v158
	s_delay_alu instid0(VALU_DEP_3) | instskip(SKIP_2) | instid1(VALU_DEP_1)
	v_pack_b32_f16 v4, v23, v4
	ds_store_2addr_b32 v1, v4, v0 offset1:240
	v_lshrrev_b32_e32 v0, 16, v87
	v_mul_f16_e64 v1, v0, v158
	v_fmac_f16_e32 v2, v0, v73
	v_lshrrev_b32_e32 v0, 16, v88
	s_delay_alu instid0(VALU_DEP_3) | instskip(NEXT) | instid1(VALU_DEP_2)
	v_fma_f16 v1, v87, v73, -v1
	v_sub_f16_e32 v2, v0, v2
	s_delay_alu instid0(VALU_DEP_2) | instskip(SKIP_1) | instid1(VALU_DEP_3)
	v_sub_f16_e32 v1, v88, v1
	v_lshrrev_b32_e32 v154, 16, v69
	v_fma_f16 v0, v0, 2.0, -v2
	v_lshrrev_b32_e32 v173, 16, v76
	v_lshrrev_b32_e32 v235, 16, v77
	v_fma_f16 v4, v88, 2.0, -v1
	v_pack_b32_f16 v1, v1, v2
	v_add_nc_u32_e32 v2, 0x1680, v3
	v_lshrrev_b32_e32 v156, 16, v65
	v_lshrrev_b32_e32 v136, 16, v71
	v_pack_b32_f16 v0, v4, v0
	v_mad_u16 v4, 0x1e0, v66, v74
	scratch_store_b32 off, v2, off offset:340 ; 4-byte Folded Spill
	v_lshrrev_b32_e32 v237, 16, v78
	v_lshrrev_b32_e32 v167, 16, v79
	ds_store_2addr_b32 v2, v0, v1 offset1:240
	v_lshrrev_b32_e32 v0, 16, v90
	v_mul_f16_e64 v1, v90, v157
	v_lshrrev_b32_e32 v2, 16, v89
	s_delay_alu instid0(VALU_DEP_2) | instskip(SKIP_1) | instid1(VALU_DEP_2)
	v_fmac_f16_e32 v1, v0, v70
	v_mul_f16_e64 v0, v0, v157
	v_sub_f16_e32 v1, v2, v1
	s_delay_alu instid0(VALU_DEP_2) | instskip(NEXT) | instid1(VALU_DEP_2)
	v_fma_f16 v0, v90, v70, -v0
	v_fma_f16 v2, v2, 2.0, -v1
	s_delay_alu instid0(VALU_DEP_2) | instskip(NEXT) | instid1(VALU_DEP_1)
	v_sub_f16_e32 v0, v89, v0
	v_fma_f16 v3, v89, 2.0, -v0
	v_pack_b32_f16 v0, v0, v1
	v_and_b32_e32 v1, 0xffff, v4
	v_mad_u16 v4, 0x1e0, v102, v106
	s_delay_alu instid0(VALU_DEP_4) | instskip(NEXT) | instid1(VALU_DEP_3)
	v_pack_b32_f16 v2, v3, v2
	v_lshlrev_b32_e32 v1, 2, v1
	ds_store_2addr_b32 v1, v2, v0 offset1:240
	v_lshrrev_b32_e32 v0, 16, v91
	scratch_store_b32 off, v1, off offset:344 ; 4-byte Folded Spill
	v_mul_f16_e64 v2, v91, v156
	v_mul_f16_e64 v1, v0, v156
	s_delay_alu instid0(VALU_DEP_2) | instskip(SKIP_1) | instid1(VALU_DEP_3)
	v_fmac_f16_e32 v2, v0, v65
	v_lshrrev_b32_e32 v0, 16, v92
	v_fma_f16 v1, v91, v65, -v1
	s_delay_alu instid0(VALU_DEP_2) | instskip(NEXT) | instid1(VALU_DEP_2)
	v_sub_f16_e32 v2, v0, v2
	v_sub_f16_e32 v1, v92, v1
	s_delay_alu instid0(VALU_DEP_2) | instskip(NEXT) | instid1(VALU_DEP_2)
	v_fma_f16 v0, v0, 2.0, -v2
	v_fma_f16 v3, v92, 2.0, -v1
	v_pack_b32_f16 v1, v1, v2
	v_add_nc_u32_e32 v2, 0x1e00, v107
	s_delay_alu instid0(VALU_DEP_3)
	v_pack_b32_f16 v0, v3, v0
	scratch_store_b32 off, v2, off offset:348 ; 4-byte Folded Spill
	ds_store_2addr_b32 v2, v0, v1 offset1:240
	v_lshrrev_b32_e32 v0, 16, v94
	v_mul_f16_e64 v1, v94, v154
	v_lshrrev_b32_e32 v2, 16, v93
	s_delay_alu instid0(VALU_DEP_2) | instskip(SKIP_1) | instid1(VALU_DEP_2)
	v_fmac_f16_e32 v1, v0, v69
	v_mul_f16_e64 v0, v0, v154
	v_sub_f16_e32 v1, v2, v1
	s_delay_alu instid0(VALU_DEP_2) | instskip(NEXT) | instid1(VALU_DEP_2)
	v_fma_f16 v0, v94, v69, -v0
	v_fma_f16 v2, v2, 2.0, -v1
	s_delay_alu instid0(VALU_DEP_2) | instskip(NEXT) | instid1(VALU_DEP_1)
	v_sub_f16_e32 v0, v93, v0
	v_fma_f16 v3, v93, 2.0, -v0
	v_pack_b32_f16 v0, v0, v1
	v_and_b32_e32 v1, 0xffff, v4
	v_mad_u16 v4, 0x1e0, v108, v109
	s_delay_alu instid0(VALU_DEP_4) | instskip(NEXT) | instid1(VALU_DEP_3)
	v_pack_b32_f16 v2, v3, v2
	v_lshlrev_b32_e32 v1, 2, v1
	ds_store_2addr_b32 v1, v2, v0 offset1:240
	v_lshrrev_b32_e32 v0, 16, v95
	scratch_store_b32 off, v1, off offset:352 ; 4-byte Folded Spill
	v_mul_f16_e64 v2, v95, v136
	v_mul_f16_e64 v1, v0, v136
	s_delay_alu instid0(VALU_DEP_2) | instskip(SKIP_1) | instid1(VALU_DEP_3)
	v_fmac_f16_e32 v2, v0, v71
	v_lshrrev_b32_e32 v0, 16, v96
	v_fma_f16 v1, v95, v71, -v1
	s_delay_alu instid0(VALU_DEP_2) | instskip(NEXT) | instid1(VALU_DEP_2)
	v_sub_f16_e32 v2, v0, v2
	v_sub_f16_e32 v1, v96, v1
	s_delay_alu instid0(VALU_DEP_2) | instskip(NEXT) | instid1(VALU_DEP_2)
	v_fma_f16 v0, v0, 2.0, -v2
	v_fma_f16 v3, v96, 2.0, -v1
	v_pack_b32_f16 v1, v1, v2
	v_add_nc_u32_e32 v2, 0x2580, v112
	scratch_store_b32 off, v60, off offset:324 ; 4-byte Folded Spill
	v_pack_b32_f16 v0, v3, v0
	scratch_store_b32 off, v2, off offset:304 ; 4-byte Folded Spill
	ds_store_2addr_b32 v2, v0, v1 offset1:240
	v_lshrrev_b32_e32 v0, 16, v98
	v_mul_f16_e64 v1, v98, v173
	v_lshrrev_b32_e32 v2, 16, v97
	s_delay_alu instid0(VALU_DEP_2) | instskip(SKIP_1) | instid1(VALU_DEP_2)
	v_fmac_f16_e32 v1, v0, v76
	v_mul_f16_e64 v0, v0, v173
	v_sub_f16_e32 v1, v2, v1
	s_delay_alu instid0(VALU_DEP_2) | instskip(NEXT) | instid1(VALU_DEP_2)
	v_fma_f16 v0, v98, v76, -v0
	v_fma_f16 v2, v2, 2.0, -v1
	s_delay_alu instid0(VALU_DEP_2) | instskip(NEXT) | instid1(VALU_DEP_1)
	v_sub_f16_e32 v0, v97, v0
	v_fma_f16 v3, v97, 2.0, -v0
	v_pack_b32_f16 v0, v0, v1
	v_and_b32_e32 v1, 0xffff, v4
	v_mad_u16 v4, 0x1e0, v110, v111
	s_delay_alu instid0(VALU_DEP_4) | instskip(NEXT) | instid1(VALU_DEP_3)
	v_pack_b32_f16 v2, v3, v2
	v_lshlrev_b32_e32 v1, 2, v1
	ds_store_2addr_b32 v1, v2, v0 offset1:240
	v_lshrrev_b32_e32 v0, 16, v99
	scratch_store_b32 off, v1, off offset:308 ; 4-byte Folded Spill
	v_mul_f16_e64 v2, v99, v235
	v_mul_f16_e64 v1, v0, v235
	s_delay_alu instid0(VALU_DEP_2) | instskip(SKIP_1) | instid1(VALU_DEP_3)
	v_fmac_f16_e32 v2, v0, v77
	v_lshrrev_b32_e32 v0, 16, v100
	v_fma_f16 v1, v99, v77, -v1
	s_delay_alu instid0(VALU_DEP_2) | instskip(NEXT) | instid1(VALU_DEP_2)
	v_sub_f16_e32 v2, v0, v2
	v_sub_f16_e32 v1, v100, v1
	s_delay_alu instid0(VALU_DEP_2) | instskip(NEXT) | instid1(VALU_DEP_2)
	v_fma_f16 v0, v0, 2.0, -v2
	v_fma_f16 v3, v100, 2.0, -v1
	v_pack_b32_f16 v1, v1, v2
	v_add_nc_u32_e32 v2, 0x2d00, v125
	s_delay_alu instid0(VALU_DEP_3)
	v_pack_b32_f16 v0, v3, v0
	scratch_store_b32 off, v2, off offset:312 ; 4-byte Folded Spill
	ds_store_2addr_b32 v2, v0, v1 offset1:240
	v_lshrrev_b32_e32 v0, 16, v104
	v_mul_f16_e64 v1, v104, v237
	v_lshrrev_b32_e32 v2, 16, v101
	s_delay_alu instid0(VALU_DEP_2) | instskip(SKIP_1) | instid1(VALU_DEP_2)
	v_fmac_f16_e32 v1, v0, v78
	v_mul_f16_e64 v0, v0, v237
	v_sub_f16_e32 v1, v2, v1
	s_delay_alu instid0(VALU_DEP_2) | instskip(NEXT) | instid1(VALU_DEP_2)
	v_fma_f16 v0, v104, v78, -v0
	v_fma_f16 v2, v2, 2.0, -v1
	s_delay_alu instid0(VALU_DEP_2) | instskip(NEXT) | instid1(VALU_DEP_1)
	v_sub_f16_e32 v0, v101, v0
	v_fma_f16 v3, v101, 2.0, -v0
	v_pack_b32_f16 v0, v0, v1
	v_and_b32_e32 v1, 0xffff, v4
	s_delay_alu instid0(VALU_DEP_3) | instskip(NEXT) | instid1(VALU_DEP_2)
	v_pack_b32_f16 v2, v3, v2
	v_lshlrev_b32_e32 v1, 2, v1
	ds_store_2addr_b32 v1, v2, v0 offset1:240
	v_lshrrev_b32_e32 v0, 16, v105
	scratch_store_b32 off, v1, off offset:316 ; 4-byte Folded Spill
	v_mul_f16_e64 v2, v105, v167
	v_mul_f16_e64 v1, v0, v167
	s_delay_alu instid0(VALU_DEP_2) | instskip(NEXT) | instid1(VALU_DEP_2)
	v_fmac_f16_e32 v2, v0, v79
	v_fma_f16 v1, v105, v79, -v1
	s_delay_alu instid0(VALU_DEP_1) | instskip(SKIP_1) | instid1(VALU_DEP_2)
	v_sub_f16_e32 v0, v48, v1
	v_lshrrev_b32_e32 v1, 16, v48
	v_fma_f16 v3, v48, 2.0, -v0
	s_delay_alu instid0(VALU_DEP_2) | instskip(NEXT) | instid1(VALU_DEP_1)
	v_sub_f16_e32 v2, v1, v2
	v_fma_f16 v1, v1, 2.0, -v2
	v_pack_b32_f16 v0, v0, v2
	v_add_nc_u32_e32 v2, 0x3480, v117
	s_delay_alu instid0(VALU_DEP_3) | instskip(SKIP_3) | instid1(VALU_DEP_1)
	v_pack_b32_f16 v1, v3, v1
	scratch_store_b32 off, v2, off offset:320 ; 4-byte Folded Spill
	ds_store_2addr_b32 v2, v1, v0 offset1:240
	v_add_co_u32 v0, s4, 0xffffffa0, v241
	v_add_co_ci_u32_e64 v1, null, 0, -1, s4
	s_waitcnt lgkmcnt(0)
	s_waitcnt_vscnt null, 0x0
	s_delay_alu instid0(VALU_DEP_2)
	v_cndmask_b32_e32 v80, v0, v24, vcc_lo
	v_lshrrev_b32_e32 v0, 20, v59
	v_cndmask_b32_e64 v81, v1, 0, vcc_lo
	s_barrier
	buffer_gl0_inv
	v_mul_lo_u16 v0, 0x1e0, v0
	v_lshlrev_b64 v[22:23], 2, v[80:81]
	s_delay_alu instid0(VALU_DEP_2) | instskip(SKIP_1) | instid1(VALU_DEP_3)
	v_sub_nc_u16 v1, v44, v0
	v_lshrrev_b32_e32 v0, 20, v57
	v_add_co_u32 v27, vcc_lo, s6, v22
	s_delay_alu instid0(VALU_DEP_4) | instskip(NEXT) | instid1(VALU_DEP_3)
	v_add_co_ci_u32_e32 v28, vcc_lo, s7, v23, vcc_lo
	v_mul_lo_u16 v0, 0x1e0, v0
	v_lshrrev_b32_e32 v23, 20, v52
	v_and_b32_e32 v1, 0xffff, v1
	global_load_b32 v74, v[27:28], off offset:1880
	v_cmp_lt_u64_e32 vcc_lo, 0x1df, v[24:25]
	v_sub_nc_u16 v2, v43, v0
	v_lshrrev_b32_e32 v0, 20, v56
	v_mul_lo_u16 v23, 0x1e0, v23
	v_lshlrev_b32_e32 v87, 2, v1
	s_delay_alu instid0(VALU_DEP_4) | instskip(NEXT) | instid1(VALU_DEP_4)
	v_and_b32_e32 v2, 0xffff, v2
	v_mul_lo_u16 v0, 0x1e0, v0
	s_delay_alu instid0(VALU_DEP_4) | instskip(NEXT) | instid1(VALU_DEP_3)
	v_sub_nc_u16 v23, v45, v23
	v_lshlrev_b32_e32 v89, 2, v2
	s_delay_alu instid0(VALU_DEP_3) | instskip(SKIP_1) | instid1(VALU_DEP_2)
	v_sub_nc_u16 v3, v46, v0
	v_lshrrev_b32_e32 v0, 20, v55
	v_and_b32_e32 v1, 0xffff, v3
	s_delay_alu instid0(VALU_DEP_2) | instskip(NEXT) | instid1(VALU_DEP_2)
	v_mul_lo_u16 v4, 0x1e0, v0
	v_lshlrev_b32_e32 v88, 2, v1
	s_delay_alu instid0(VALU_DEP_2) | instskip(SKIP_2) | instid1(VALU_DEP_3)
	v_sub_nc_u16 v22, v47, v4
	v_lshrrev_b32_e32 v47, 19, v51
	v_lshrrev_b32_e32 v4, 20, v54
	v_and_b32_e32 v2, 0xffff, v22
	s_delay_alu instid0(VALU_DEP_3) | instskip(NEXT) | instid1(VALU_DEP_3)
	v_mul_lo_u16 v27, 0x1e0, v47
	v_mul_lo_u16 v4, 0x1e0, v4
	v_mad_u16 v0, 0x3c0, v0, v22
	s_delay_alu instid0(VALU_DEP_4) | instskip(NEXT) | instid1(VALU_DEP_4)
	v_lshlrev_b32_e32 v2, 2, v2
	v_sub_nc_u16 v49, v26, v27
	s_delay_alu instid0(VALU_DEP_4) | instskip(SKIP_2) | instid1(VALU_DEP_4)
	v_sub_nc_u16 v4, v21, v4
	v_lshrrev_b32_e32 v21, 20, v53
	v_and_b32_e32 v0, 0xffff, v0
	v_and_b32_e32 v27, 0xffff, v49
	s_delay_alu instid0(VALU_DEP_4) | instskip(NEXT) | instid1(VALU_DEP_4)
	v_and_b32_e32 v3, 0xffff, v4
	v_mul_lo_u16 v21, 0x1e0, v21
	v_mad_u16 v47, 0x3c0, v47, v49
	s_delay_alu instid0(VALU_DEP_4)
	v_lshlrev_b32_e32 v27, 2, v27
	s_clause 0x6
	global_load_b32 v66, v27, s[6:7] offset:1880
	global_load_b32 v48, v58, s[6:7] offset:1880
	;; [unrolled: 1-line block ×7, first 2 shown]
	v_sub_nc_u16 v21, v42, v21
	ds_load_2addr_stride64_b32 v[42:43], v58 offset0:28 offset1:30
	v_lshlrev_b32_e32 v90, 2, v3
	v_and_b32_e32 v4, 0xffff, v21
	v_and_b32_e32 v21, 0xffff, v23
	s_delay_alu instid0(VALU_DEP_2) | instskip(NEXT) | instid1(VALU_DEP_2)
	v_lshlrev_b32_e32 v91, 2, v4
	v_lshlrev_b32_e32 v92, 2, v21
	s_waitcnt lgkmcnt(0)
	v_lshrrev_b32_e32 v27, 16, v43
	v_lshrrev_b32_e32 v153, 16, v42
	s_waitcnt vmcnt(7)
	v_lshrrev_b32_e32 v125, 16, v74
	s_waitcnt vmcnt(6)
	;; [unrolled: 2-line block ×7, first 2 shown]
	v_lshrrev_b32_e32 v172, 16, v52
	v_mul_f16_e32 v45, v43, v112
	v_mul_f16_e32 v44, v27, v112
	s_delay_alu instid0(VALU_DEP_2)
	v_fmac_f16_e32 v45, v27, v48
	ds_load_2addr_stride64_b32 v[27:28], v58 offset0:32 offset1:34
	v_fma_f16 v54, v43, v48, -v44
	ds_load_2addr_stride64_b32 v[43:44], v58 offset1:2
	s_waitcnt lgkmcnt(1)
	v_lshrrev_b32_e32 v46, 16, v27
	v_mul_f16_e64 v51, v27, v172
	s_waitcnt lgkmcnt(0)
	v_sub_f16_e32 v102, v43, v54
	v_lshrrev_b32_e32 v54, 16, v44
	v_lshrrev_b32_e32 v1, 16, v28
	v_fmac_f16_e32 v51, v46, v52
	v_mul_f16_e64 v46, v46, v172
	s_delay_alu instid0(VALU_DEP_2) | instskip(NEXT) | instid1(VALU_DEP_2)
	v_sub_f16_e32 v51, v54, v51
	v_fma_f16 v27, v27, v52, -v46
	v_lshrrev_b32_e32 v46, 16, v43
	v_fma_f16 v43, v43, 2.0, -v102
	s_delay_alu instid0(VALU_DEP_3) | instskip(NEXT) | instid1(VALU_DEP_3)
	v_sub_f16_e32 v27, v44, v27
	v_sub_f16_e32 v104, v46, v45
	s_delay_alu instid0(VALU_DEP_2) | instskip(NEXT) | instid1(VALU_DEP_2)
	v_fma_f16 v44, v44, 2.0, -v27
	v_fma_f16 v45, v46, 2.0, -v104
	s_delay_alu instid0(VALU_DEP_1)
	v_pack_b32_f16 v93, v43, v45
	v_fma_f16 v43, v54, 2.0, -v51
	s_clause 0x6
	global_load_b32 v21, v58, s[6:7] offset:2904
	global_load_b32 v54, v87, s[6:7] offset:1880
	;; [unrolled: 1-line block ×7, first 2 shown]
	v_pack_b32_f16 v105, v44, v43
	ds_load_2addr_stride64_b32 v[43:44], v58 offset0:4 offset1:6
	ds_load_2addr_stride64_b32 v[45:46], v58 offset0:36 offset1:38
	;; [unrolled: 1-line block ×12, first 2 shown]
	s_waitcnt vmcnt(0) lgkmcnt(0)
	s_barrier
	buffer_gl0_inv
	ds_store_2addr_stride64_b32 v58, v93, v105 offset1:2
	v_lshrrev_b32_e32 v4, 16, v43
	v_mul_f16_e32 v24, v46, v126
	v_lshrrev_b32_e32 v93, 16, v21
	v_lshrrev_b32_e32 v111, 16, v54
	;; [unrolled: 1-line block ×4, first 2 shown]
	s_delay_alu instid0(VALU_DEP_4) | instskip(SKIP_2) | instid1(VALU_DEP_3)
	v_mul_f16_e32 v2, v1, v93
	v_mul_f16_e32 v3, v28, v93
	v_lshrrev_b32_e32 v105, 16, v56
	v_fma_f16 v2, v28, v21, -v2
	s_delay_alu instid0(VALU_DEP_3)
	v_fmac_f16_e32 v3, v1, v21
	v_pack_b32_f16 v1, v102, v104
	v_mul_f16_e64 v28, v83, v129
	v_lshrrev_b32_e32 v102, 16, v60
	v_sub_f16_e32 v2, v43, v2
	v_sub_f16_e32 v3, v4, v3
	v_lshrrev_b32_e32 v104, 16, v61
	s_delay_alu instid0(VALU_DEP_3) | instskip(NEXT) | instid1(VALU_DEP_3)
	v_fma_f16 v23, v43, 2.0, -v2
	v_fma_f16 v4, v4, 2.0, -v3
	v_pack_b32_f16 v2, v2, v3
	v_lshrrev_b32_e32 v3, 16, v46
	v_lshrrev_b32_e32 v43, 16, v81
	s_delay_alu instid0(VALU_DEP_4) | instskip(SKIP_1) | instid1(VALU_DEP_4)
	v_pack_b32_f16 v4, v23, v4
	v_add_nc_u32_e32 v23, 0x400, v58
	v_fmac_f16_e32 v24, v3, v53
	ds_store_2addr_b32 v23, v4, v1 offset1:224
	v_pack_b32_f16 v1, v27, v51
	v_mul_f16_e32 v23, v45, v125
	v_mov_b32_e32 v27, v25
	v_lshrrev_b32_e32 v25, 16, v83
	v_mul_f16_e32 v4, v3, v126
	ds_store_2addr_stride64_b32 v165, v1, v2 offset0:9 offset1:11
	v_cndmask_b32_e64 v1, 0, 0x3c0, vcc_lo
	v_cmp_gt_u64_e32 vcc_lo, 0x3c0, v[26:27]
	v_fmac_f16_e32 v28, v25, v55
	v_mul_f16_e64 v25, v25, v129
	v_fma_f16 v4, v46, v53, -v4
	v_add_lshl_u32 v133, v1, v80, 2
	v_lshrrev_b32_e32 v1, 16, v45
	v_lshrrev_b32_e32 v51, 16, v106
	v_fma_f16 v25, v83, v55, -v25
	v_sub_f16_e32 v4, v81, v4
	v_mul_f16_e32 v83, v106, v102
	v_mul_f16_e32 v2, v1, v125
	v_fmac_f16_e32 v23, v1, v74
	v_sub_f16_e32 v25, v82, v25
	v_mul_f16_e32 v80, v51, v102
	v_fmac_f16_e32 v83, v51, v60
	v_fma_f16 v2, v45, v74, -v2
	v_fma_f16 v45, v81, 2.0, -v4
	v_fma_f16 v46, v82, 2.0, -v25
	v_lshrrev_b32_e32 v81, 16, v107
	v_fma_f16 v80, v106, v60, -v80
	v_sub_f16_e32 v1, v44, v2
	v_lshrrev_b32_e32 v2, 16, v44
	v_lshrrev_b32_e32 v106, 16, v62
	s_delay_alu instid0(VALU_DEP_4) | instskip(NEXT) | instid1(VALU_DEP_4)
	v_sub_f16_e32 v80, v101, v80
	v_fma_f16 v3, v44, 2.0, -v1
	s_delay_alu instid0(VALU_DEP_4) | instskip(SKIP_3) | instid1(VALU_DEP_4)
	v_sub_f16_e32 v23, v2, v23
	v_lshrrev_b32_e32 v44, 16, v82
	v_mul_f16_e32 v82, v81, v108
	v_mul_f16_e64 v117, v152, v106
	v_fma_f16 v2, v2, 2.0, -v23
	v_pack_b32_f16 v1, v1, v23
	s_delay_alu instid0(VALU_DEP_4) | instskip(NEXT) | instid1(VALU_DEP_3)
	v_fma_f16 v82, v107, v59, -v82
	v_pack_b32_f16 v2, v3, v2
	v_sub_f16_e32 v3, v43, v24
	v_sub_f16_e32 v24, v44, v28
	s_delay_alu instid0(VALU_DEP_4) | instskip(NEXT) | instid1(VALU_DEP_3)
	v_sub_f16_e64 v82, v149, v82
	v_fma_f16 v23, v43, 2.0, -v3
	s_delay_alu instid0(VALU_DEP_3) | instskip(NEXT) | instid1(VALU_DEP_2)
	v_fma_f16 v28, v44, 2.0, -v24
	v_pack_b32_f16 v23, v45, v23
	s_delay_alu instid0(VALU_DEP_2)
	v_pack_b32_f16 v28, v46, v28
	ds_store_b32 v133, v2
	ds_store_b32 v133, v1 offset:1920
	ds_store_2addr_stride64_b32 v165, v23, v28 offset0:15 offset1:17
	v_lshrrev_b32_e32 v1, 16, v84
	v_mul_f16_e64 v23, v84, v128
	v_lshrrev_b32_e32 v28, 16, v99
	s_delay_alu instid0(VALU_DEP_3) | instskip(NEXT) | instid1(VALU_DEP_3)
	v_mul_f16_e64 v2, v1, v128
	v_fmac_f16_e32 v23, v1, v63
	v_pack_b32_f16 v1, v4, v3
	v_lshrrev_b32_e32 v3, 16, v85
	s_delay_alu instid0(VALU_DEP_4) | instskip(SKIP_1) | instid1(VALU_DEP_3)
	v_fma_f16 v2, v84, v63, -v2
	v_mul_f16_e32 v84, v107, v108
	v_sub_f16_e32 v4, v3, v23
	s_delay_alu instid0(VALU_DEP_3) | instskip(NEXT) | instid1(VALU_DEP_3)
	v_sub_f16_e32 v2, v85, v2
	v_fmac_f16_e32 v84, v81, v59
	v_lshrrev_b32_e32 v81, 16, v96
	s_delay_alu instid0(VALU_DEP_4) | instskip(NEXT) | instid1(VALU_DEP_4)
	v_fma_f16 v3, v3, 2.0, -v4
	v_fma_f16 v23, v85, 2.0, -v2
	v_pack_b32_f16 v2, v2, v4
	v_lshrrev_b32_e32 v85, 16, v151
	s_delay_alu instid0(VALU_DEP_3)
	v_pack_b32_f16 v3, v23, v3
	v_add_nc_u32_e32 v23, 0x1380, v58
	ds_store_2addr_b32 v23, v3, v1 offset1:224
	v_pack_b32_f16 v1, v25, v24
	v_lshrrev_b32_e32 v3, 16, v95
	v_mul_f16_e32 v23, v94, v110
	ds_store_2addr_stride64_b32 v58, v1, v2 offset0:25 offset1:27
	v_add_co_u32 v1, s4, 0xffffffc0, v241
	s_delay_alu instid0(VALU_DEP_1) | instskip(SKIP_1) | instid1(VALU_DEP_3)
	v_add_co_ci_u32_e64 v2, null, 0, -1, s4
	v_mul_f16_e32 v4, v3, v111
	v_cndmask_b32_e32 v24, v1, v26, vcc_lo
	v_lshrrev_b32_e32 v1, 16, v94
	s_delay_alu instid0(VALU_DEP_4) | instskip(NEXT) | instid1(VALU_DEP_4)
	v_cndmask_b32_e64 v25, v2, 0, vcc_lo
	v_fma_f16 v4, v95, v54, -v4
	s_delay_alu instid0(VALU_DEP_3) | instskip(NEXT) | instid1(VALU_DEP_3)
	v_mul_f16_e32 v2, v1, v110
	v_lshlrev_b64 v[43:44], 2, v[24:25]
	v_mul_f16_e32 v25, v95, v111
	v_fmac_f16_e32 v23, v1, v66
	v_lshrrev_b32_e32 v1, 16, v98
	v_fma_f16 v2, v94, v66, -v2
	v_sub_f16_e32 v4, v96, v4
	v_add_co_u32 v45, vcc_lo, s6, v43
	v_add_co_ci_u32_e32 v46, vcc_lo, s7, v44, vcc_lo
	v_mul_f16_e32 v44, v99, v105
	v_mul_f16_e32 v43, v28, v105
	v_fmac_f16_e32 v25, v3, v54
	v_mul_f16_e32 v3, v98, v109
	v_sub_f16_e32 v2, v86, v2
	v_fmac_f16_e32 v44, v28, v56
	v_lshrrev_b32_e32 v28, 16, v86
	v_fma_f16 v43, v99, v56, -v43
	v_fmac_f16_e32 v3, v1, v57
	v_mul_f16_e32 v1, v1, v109
	v_mul_f16_e64 v99, v151, v104
	v_sub_f16_e32 v23, v28, v23
	v_fma_f16 v51, v86, 2.0, -v2
	v_sub_f16_e32 v43, v100, v43
	v_fma_f16 v1, v98, v57, -v1
	v_mul_f16_e32 v94, v85, v104
	v_fma_f16 v28, v28, 2.0, -v23
	v_pack_b32_f16 v2, v2, v23
	v_and_b32_e32 v23, 0xffff, v47
	v_fmac_f16_e32 v99, v85, v61
	v_lshrrev_b32_e32 v85, 16, v97
	v_fma_f16 v86, v96, 2.0, -v4
	v_lshrrev_b32_e32 v96, 16, v100
	v_fma_f16 v107, v100, 2.0, -v43
	v_pack_b32_f16 v28, v51, v28
	v_lshlrev_b32_e32 v100, 2, v23
	v_lshrrev_b32_e32 v95, 16, v152
	v_sub_f16_e32 v1, v97, v1
	ds_store_b32 v100, v28
	ds_store_b32 v100, v2 offset:1920
	v_sub_f16_e32 v2, v81, v25
	v_sub_f16_e32 v3, v85, v3
	v_mul_f16_e32 v98, v95, v106
	v_fmac_f16_e32 v117, v95, v62
	v_fma_f16 v95, v97, 2.0, -v1
	v_fma_f16 v23, v81, 2.0, -v2
	v_pack_b32_f16 v2, v4, v2
	v_fma_f16 v4, v85, 2.0, -v3
	v_pack_b32_f16 v1, v1, v3
	v_sub_f16_e32 v3, v96, v44
	v_lshrrev_b32_e32 v97, 16, v101
	v_pack_b32_f16 v23, v86, v23
	v_pack_b32_f16 v4, v95, v4
	v_fma_f16 v101, v101, 2.0, -v80
	v_fma_f16 v25, v96, 2.0, -v3
	v_pack_b32_f16 v3, v43, v3
	v_fma_f16 v94, v151, v61, -v94
	v_lshrrev_b32_e32 v151, 16, v149
	v_fma_f16 v98, v152, v62, -v98
	v_pack_b32_f16 v25, v107, v25
	ds_store_b32 v87, v23 offset:7680
	ds_store_b32 v87, v2 offset:9600
	;; [unrolled: 1-line block ×6, first 2 shown]
	v_sub_f16_e32 v1, v97, v83
	v_lshrrev_b32_e32 v152, 16, v150
	v_lshlrev_b32_e32 v107, 2, v0
	v_sub_f16_e64 v0, v151, v84
	v_sub_f16_e64 v94, v150, v94
	v_fma_f16 v2, v97, 2.0, -v1
	v_pack_b32_f16 v1, v80, v1
	v_sub_f16_e32 v98, v42, v98
	v_sub_f16_e64 v4, v153, v117
	v_fma_f16 v149, v149, 2.0, -v82
	v_pack_b32_f16 v2, v101, v2
	ds_store_b32 v107, v2
	ds_store_b32 v107, v1 offset:1920
	v_sub_f16_e64 v2, v152, v99
	v_fma_f16 v1, v151, 2.0, -v0
	v_fma_f16 v150, v150, 2.0, -v94
	;; [unrolled: 1-line block ×5, first 2 shown]
	v_pack_b32_f16 v1, v149, v1
	v_pack_b32_f16 v0, v82, v0
	;; [unrolled: 1-line block ×6, first 2 shown]
	ds_store_b32 v90, v1 offset:11520
	ds_store_b32 v90, v0 offset:13440
	;; [unrolled: 1-line block ×6, first 2 shown]
	v_add_co_u32 v22, s4, s6, v58
	s_delay_alu instid0(VALU_DEP_1) | instskip(SKIP_1) | instid1(VALU_DEP_2)
	v_add_co_ci_u32_e64 v23, null, s7, 0, s4
	s_waitcnt lgkmcnt(0)
	v_add_co_u32 v80, vcc_lo, 0x1000, v22
	s_delay_alu instid0(VALU_DEP_2)
	v_add_co_ci_u32_e32 v81, vcc_lo, 0, v23, vcc_lo
	s_barrier
	buffer_gl0_inv
	s_clause 0x5
	global_load_b32 v49, v58, s[6:7] offset:3800
	global_load_b32 v149, v[80:81], off offset:1496
	global_load_b32 v150, v[80:81], off offset:984
	;; [unrolled: 1-line block ×3, first 2 shown]
	global_load_b32 v152, v58, s[6:7] offset:4056
	global_load_b32 v43, v[80:81], off offset:216
	ds_load_2addr_stride64_b32 v[82:83], v58 offset0:28 offset1:30
	ds_load_2addr_stride64_b32 v[84:85], v58 offset0:32 offset1:34
	v_cmp_lt_u64_e32 vcc_lo, 0x3bf, v[26:27]
	s_mov_b32 s6, 0x11111111
	s_mov_b32 s7, 0x3f311111
	s_waitcnt lgkmcnt(1)
	v_lshrrev_b32_e32 v0, 16, v83
	s_waitcnt lgkmcnt(0)
	v_lshrrev_b32_e32 v2, 16, v84
	s_waitcnt vmcnt(5)
	v_lshrrev_b32_e32 v101, 16, v49
	s_waitcnt vmcnt(0)
	v_lshrrev_b32_e32 v99, 16, v43
	s_delay_alu instid0(VALU_DEP_2) | instskip(NEXT) | instid1(VALU_DEP_2)
	v_mul_f16_e32 v1, v83, v101
	v_mul_f16_e32 v3, v84, v99
	s_delay_alu instid0(VALU_DEP_2) | instskip(SKIP_1) | instid1(VALU_DEP_3)
	v_fmac_f16_e32 v1, v0, v49
	v_mul_f16_e32 v0, v0, v101
	v_fmac_f16_e32 v3, v2, v43
	v_mul_f16_e32 v2, v2, v99
	s_delay_alu instid0(VALU_DEP_3) | instskip(NEXT) | instid1(VALU_DEP_2)
	v_fma_f16 v0, v83, v49, -v0
	v_fma_f16 v2, v84, v43, -v2
	ds_load_2addr_stride64_b32 v[83:84], v58 offset1:2
	s_waitcnt lgkmcnt(0)
	v_lshrrev_b32_e32 v25, 16, v84
	v_sub_f16_e32 v2, v84, v2
	v_lshrrev_b32_e32 v4, 16, v83
	v_sub_f16_e32 v0, v83, v0
	s_delay_alu instid0(VALU_DEP_4) | instskip(NEXT) | instid1(VALU_DEP_4)
	v_sub_f16_e32 v3, v25, v3
	v_fma_f16 v42, v84, 2.0, -v2
	s_delay_alu instid0(VALU_DEP_4) | instskip(NEXT) | instid1(VALU_DEP_4)
	v_sub_f16_e32 v1, v4, v1
	v_fma_f16 v28, v83, 2.0, -v0
	s_delay_alu instid0(VALU_DEP_4) | instskip(SKIP_1) | instid1(VALU_DEP_4)
	v_fma_f16 v25, v25, 2.0, -v3
	v_pack_b32_f16 v2, v2, v3
	v_fma_f16 v4, v4, 2.0, -v1
	v_pack_b32_f16 v0, v0, v1
	s_delay_alu instid0(VALU_DEP_4)
	v_pack_b32_f16 v25, v42, v25
	s_clause 0x8
	global_load_b32 v51, v[45:46], off offset:3800
	global_load_b32 v42, v[80:81], off offset:728
	;; [unrolled: 1-line block ×9, first 2 shown]
	v_pack_b32_f16 v4, v28, v4
	ds_load_2addr_stride64_b32 v[83:84], v58 offset0:4 offset1:6
	ds_load_2addr_stride64_b32 v[94:95], v58 offset0:36 offset1:38
	;; [unrolled: 1-line block ×12, first 2 shown]
	s_waitcnt vmcnt(0) lgkmcnt(0)
	s_barrier
	buffer_gl0_inv
	ds_store_2addr_stride64_b32 v58, v4, v25 offset1:2
	v_lshrrev_b32_e32 v4, 16, v85
	v_lshrrev_b32_e32 v1, 16, v178
	;; [unrolled: 1-line block ×6, first 2 shown]
	s_delay_alu instid0(VALU_DEP_3) | instskip(SKIP_1) | instid1(VALU_DEP_2)
	v_mul_f16_e32 v25, v4, v97
	v_mul_f16_e32 v28, v85, v97
	v_fma_f16 v25, v85, v42, -v25
	s_delay_alu instid0(VALU_DEP_2) | instskip(SKIP_1) | instid1(VALU_DEP_3)
	v_fmac_f16_e32 v28, v4, v42
	v_lshrrev_b32_e32 v4, 16, v83
	v_sub_f16_e32 v3, v83, v25
	s_delay_alu instid0(VALU_DEP_2) | instskip(NEXT) | instid1(VALU_DEP_1)
	v_sub_f16_e32 v25, v4, v28
	v_pack_b32_f16 v28, v3, v25
	v_fma_f16 v3, v83, 2.0, -v3
	ds_store_2addr_stride64_b32 v58, v2, v28 offset0:17 offset1:19
	v_fma_f16 v2, v4, 2.0, -v25
	v_lshrrev_b32_e32 v4, 16, v94
	v_mul_f16_e32 v25, v94, v98
	v_lshrrev_b32_e32 v28, 16, v84
	s_delay_alu instid0(VALU_DEP_4) | instskip(NEXT) | instid1(VALU_DEP_3)
	v_pack_b32_f16 v2, v3, v2
	v_fmac_f16_e32 v25, v4, v44
	v_mul_f16_e32 v4, v4, v98
	s_delay_alu instid0(VALU_DEP_2) | instskip(NEXT) | instid1(VALU_DEP_2)
	v_sub_f16_e32 v3, v28, v25
	v_fma_f16 v4, v94, v44, -v4
	v_lshrrev_b32_e32 v94, 16, v47
	s_delay_alu instid0(VALU_DEP_3) | instskip(NEXT) | instid1(VALU_DEP_3)
	v_fma_f16 v25, v28, 2.0, -v3
	v_sub_f16_e32 v4, v84, v4
	v_mul_f16_e32 v28, v95, v96
	s_delay_alu instid0(VALU_DEP_2) | instskip(NEXT) | instid1(VALU_DEP_1)
	v_fma_f16 v83, v84, 2.0, -v4
	v_pack_b32_f16 v25, v83, v25
	ds_store_2addr_stride64_b32 v58, v2, v25 offset0:4 offset1:6
	v_lshrrev_b32_e32 v2, 16, v95
	s_delay_alu instid0(VALU_DEP_1) | instskip(SKIP_3) | instid1(VALU_DEP_4)
	v_mul_f16_e32 v25, v2, v96
	v_fmac_f16_e32 v28, v2, v45
	v_pack_b32_f16 v2, v4, v3
	v_lshrrev_b32_e32 v4, 16, v174
	v_fma_f16 v25, v95, v45, -v25
	v_lshrrev_b32_e32 v95, 16, v46
	s_delay_alu instid0(VALU_DEP_2) | instskip(NEXT) | instid1(VALU_DEP_4)
	v_sub_f16_e64 v3, v174, v25
	v_sub_f16_e32 v25, v4, v28
	s_delay_alu instid0(VALU_DEP_1)
	v_pack_b32_f16 v28, v3, v25
	v_fma_f16 v3, v174, 2.0, -v3
	ds_store_2addr_stride64_b32 v58, v2, v28 offset0:21 offset1:23
	v_fma_f16 v2, v4, 2.0, -v25
	v_lshrrev_b32_e32 v4, 16, v176
	v_mul_f16_e64 v25, v176, v95
	v_lshrrev_b32_e32 v28, 16, v175
	s_delay_alu instid0(VALU_DEP_4) | instskip(NEXT) | instid1(VALU_DEP_3)
	v_pack_b32_f16 v2, v3, v2
	v_fmac_f16_e32 v25, v4, v46
	v_mul_f16_e32 v4, v4, v95
	s_delay_alu instid0(VALU_DEP_2) | instskip(NEXT) | instid1(VALU_DEP_2)
	v_sub_f16_e32 v3, v28, v25
	v_fma_f16 v4, v176, v46, -v4
	s_delay_alu instid0(VALU_DEP_2) | instskip(NEXT) | instid1(VALU_DEP_2)
	v_fma_f16 v25, v28, 2.0, -v3
	v_sub_f16_e64 v4, v175, v4
	v_mul_f16_e64 v28, v177, v94
	s_delay_alu instid0(VALU_DEP_2) | instskip(NEXT) | instid1(VALU_DEP_1)
	v_fma_f16 v83, v175, 2.0, -v4
	v_pack_b32_f16 v25, v83, v25
	ds_store_2addr_stride64_b32 v58, v2, v25 offset0:8 offset1:10
	v_lshrrev_b32_e32 v2, 16, v177
	s_delay_alu instid0(VALU_DEP_1) | instskip(SKIP_1) | instid1(VALU_DEP_2)
	v_mul_f16_e32 v25, v2, v94
	v_fmac_f16_e32 v28, v2, v47
	v_fma_f16 v25, v177, v47, -v25
	s_delay_alu instid0(VALU_DEP_2) | instskip(NEXT) | instid1(VALU_DEP_2)
	v_sub_f16_e32 v2, v1, v28
	v_sub_f16_e64 v25, v178, v25
	s_delay_alu instid0(VALU_DEP_2) | instskip(NEXT) | instid1(VALU_DEP_2)
	v_fma_f16 v1, v1, 2.0, -v2
	v_fma_f16 v28, v178, 2.0, -v25
	s_delay_alu instid0(VALU_DEP_1)
	v_pack_b32_f16 v1, v28, v1
	ds_store_2addr_stride64_b32 v58, v1, v0 offset0:12 offset1:15
	v_pack_b32_f16 v0, v4, v3
	v_pack_b32_f16 v1, v25, v2
	v_lshrrev_b32_e32 v2, 16, v179
	ds_store_2addr_stride64_b32 v58, v0, v1 offset0:25 offset1:27
	v_cndmask_b32_e64 v0, 0, 0x780, vcc_lo
	v_mul_f16_e64 v1, v185, v117
	s_delay_alu instid0(VALU_DEP_2)
	v_add_lshl_u32 v4, v0, v24, 2
	v_lshrrev_b32_e32 v0, 16, v185
	v_lshrrev_b32_e32 v24, 16, v190
	scratch_store_b32 off, v4, off offset:356 ; 4-byte Folded Spill
	v_fmac_f16_e32 v1, v0, v51
	v_mul_f16_e32 v0, v0, v117
	s_delay_alu instid0(VALU_DEP_2) | instskip(NEXT) | instid1(VALU_DEP_2)
	v_sub_f16_e32 v1, v2, v1
	v_fma_f16 v0, v185, v51, -v0
	s_delay_alu instid0(VALU_DEP_2) | instskip(NEXT) | instid1(VALU_DEP_2)
	v_fma_f16 v2, v2, 2.0, -v1
	v_sub_f16_e64 v0, v179, v0
	s_delay_alu instid0(VALU_DEP_1) | instskip(SKIP_1) | instid1(VALU_DEP_2)
	v_fma_f16 v3, v179, 2.0, -v0
	v_pack_b32_f16 v0, v0, v1
	v_pack_b32_f16 v2, v3, v2
	ds_store_2addr_stride64_b32 v4, v2, v0 offset1:15
	v_lshrrev_b32_e32 v0, 16, v186
	v_lshrrev_b32_e32 v2, 16, v152
	;; [unrolled: 1-line block ×3, first 2 shown]
	s_delay_alu instid0(VALU_DEP_2) | instskip(SKIP_1) | instid1(VALU_DEP_3)
	v_mul_f16_e32 v1, v0, v2
	v_mul_f16_e64 v2, v186, v2
	v_mul_f16_e64 v3, v196, v4
	s_delay_alu instid0(VALU_DEP_3) | instskip(NEXT) | instid1(VALU_DEP_3)
	v_fma_f16 v1, v186, v152, -v1
	v_fmac_f16_e64 v2, v0, v152
	v_lshrrev_b32_e32 v0, 16, v196
	s_delay_alu instid0(VALU_DEP_3) | instskip(NEXT) | instid1(VALU_DEP_2)
	v_sub_f16_e64 v1, v189, v1
	v_fmac_f16_e64 v3, v0, v151
	v_mul_f16_e32 v0, v0, v4
	v_lshrrev_b32_e32 v4, 16, v189
	s_delay_alu instid0(VALU_DEP_4) | instskip(NEXT) | instid1(VALU_DEP_4)
	v_fma_f16 v25, v189, 2.0, -v1
	v_sub_f16_e32 v3, v24, v3
	s_delay_alu instid0(VALU_DEP_4) | instskip(NEXT) | instid1(VALU_DEP_4)
	v_fma_f16 v0, v196, v151, -v0
	v_sub_f16_e32 v2, v4, v2
	s_delay_alu instid0(VALU_DEP_3) | instskip(NEXT) | instid1(VALU_DEP_3)
	v_fma_f16 v24, v24, 2.0, -v3
	v_sub_f16_e64 v0, v190, v0
	s_delay_alu instid0(VALU_DEP_3) | instskip(SKIP_1) | instid1(VALU_DEP_3)
	v_fma_f16 v4, v4, 2.0, -v2
	v_pack_b32_f16 v1, v1, v2
	v_fma_f16 v26, v190, 2.0, -v0
	s_delay_alu instid0(VALU_DEP_3) | instskip(SKIP_2) | instid1(VALU_DEP_4)
	v_pack_b32_f16 v4, v25, v4
	v_lshrrev_b32_e32 v25, 16, v150
	v_pack_b32_f16 v0, v0, v3
	v_pack_b32_f16 v24, v26, v24
	ds_store_2addr_stride64_b32 v58, v4, v24 offset0:31 offset1:33
	v_lshrrev_b32_e32 v4, 16, v197
	s_delay_alu instid0(VALU_DEP_1) | instskip(SKIP_1) | instid1(VALU_DEP_2)
	v_mul_f16_e32 v24, v4, v25
	v_mul_f16_e64 v25, v197, v25
	v_fma_f16 v24, v197, v150, -v24
	s_delay_alu instid0(VALU_DEP_2) | instskip(SKIP_1) | instid1(VALU_DEP_3)
	v_fmac_f16_e64 v25, v4, v150
	v_lshrrev_b32_e32 v4, 16, v198
	v_sub_f16_e64 v3, v198, v24
	s_delay_alu instid0(VALU_DEP_2) | instskip(NEXT) | instid1(VALU_DEP_1)
	v_sub_f16_e32 v24, v4, v25
	v_pack_b32_f16 v25, v3, v24
	v_fma_f16 v3, v198, 2.0, -v3
	ds_store_2addr_stride64_b32 v58, v0, v25 offset0:48 offset1:50
	v_lshrrev_b32_e32 v25, 16, v149
	v_fma_f16 v0, v4, 2.0, -v24
	v_lshrrev_b32_e32 v4, 16, v200
	s_delay_alu instid0(VALU_DEP_3) | instskip(NEXT) | instid1(VALU_DEP_3)
	v_mul_f16_e64 v24, v200, v25
	v_pack_b32_f16 v0, v3, v0
	s_delay_alu instid0(VALU_DEP_2) | instskip(SKIP_2) | instid1(VALU_DEP_2)
	v_fmac_f16_e64 v24, v4, v149
	v_mul_f16_e32 v4, v4, v25
	v_lshrrev_b32_e32 v25, 16, v199
	v_fma_f16 v4, v200, v149, -v4
	s_delay_alu instid0(VALU_DEP_2) | instskip(NEXT) | instid1(VALU_DEP_2)
	v_sub_f16_e32 v3, v25, v24
	v_sub_f16_e64 v4, v199, v4
	s_delay_alu instid0(VALU_DEP_2) | instskip(SKIP_1) | instid1(VALU_DEP_3)
	v_fma_f16 v24, v25, 2.0, -v3
	v_lshrrev_b32_e32 v25, 16, v159
	v_fma_f16 v26, v199, 2.0, -v4
	s_delay_alu instid0(VALU_DEP_1) | instskip(SKIP_2) | instid1(VALU_DEP_1)
	v_pack_b32_f16 v24, v26, v24
	ds_store_2addr_stride64_b32 v58, v0, v24 offset0:35 offset1:37
	v_lshrrev_b32_e32 v0, 16, v201
	v_mul_f16_e32 v24, v0, v25
	v_mul_f16_e64 v25, v201, v25
	s_delay_alu instid0(VALU_DEP_2) | instskip(NEXT) | instid1(VALU_DEP_2)
	v_fma_f16 v24, v201, v159, -v24
	v_fmac_f16_e64 v25, v0, v159
	v_pack_b32_f16 v0, v4, v3
	v_lshrrev_b32_e32 v4, 16, v202
	s_delay_alu instid0(VALU_DEP_4) | instskip(NEXT) | instid1(VALU_DEP_2)
	v_sub_f16_e64 v3, v202, v24
	v_sub_f16_e32 v24, v4, v25
	s_delay_alu instid0(VALU_DEP_1)
	v_pack_b32_f16 v25, v3, v24
	v_fma_f16 v3, v202, 2.0, -v3
	ds_store_2addr_stride64_b32 v58, v0, v25 offset0:52 offset1:54
	v_lshrrev_b32_e32 v25, 16, v155
	v_fma_f16 v0, v4, 2.0, -v24
	v_lshrrev_b32_e32 v4, 16, v204
	s_delay_alu instid0(VALU_DEP_3) | instskip(NEXT) | instid1(VALU_DEP_3)
	v_mul_f16_e64 v24, v204, v25
	v_pack_b32_f16 v0, v3, v0
	s_delay_alu instid0(VALU_DEP_2) | instskip(SKIP_2) | instid1(VALU_DEP_2)
	v_fmac_f16_e64 v24, v4, v155
	v_mul_f16_e32 v4, v4, v25
	v_lshrrev_b32_e32 v25, 16, v203
	v_fma_f16 v4, v204, v155, -v4
	s_delay_alu instid0(VALU_DEP_2) | instskip(NEXT) | instid1(VALU_DEP_2)
	v_sub_f16_e32 v3, v25, v24
	v_sub_f16_e64 v4, v203, v4
	s_delay_alu instid0(VALU_DEP_2) | instskip(SKIP_1) | instid1(VALU_DEP_3)
	v_fma_f16 v24, v25, 2.0, -v3
	v_lshrrev_b32_e32 v25, 16, v153
	v_fma_f16 v26, v203, 2.0, -v4
	s_delay_alu instid0(VALU_DEP_1) | instskip(SKIP_2) | instid1(VALU_DEP_1)
	v_pack_b32_f16 v24, v26, v24
	ds_store_2addr_stride64_b32 v58, v0, v24 offset0:39 offset1:41
	v_lshrrev_b32_e32 v0, 16, v205
	v_mul_f16_e32 v24, v0, v25
	v_mul_f16_e64 v25, v205, v25
	s_delay_alu instid0(VALU_DEP_2) | instskip(NEXT) | instid1(VALU_DEP_2)
	v_fma_f16 v24, v205, v153, -v24
	v_fmac_f16_e64 v25, v0, v153
	s_delay_alu instid0(VALU_DEP_2) | instskip(SKIP_1) | instid1(VALU_DEP_2)
	v_sub_f16_e32 v0, v82, v24
	v_lshrrev_b32_e32 v24, 16, v82
	v_fma_f16 v26, v82, 2.0, -v0
	s_delay_alu instid0(VALU_DEP_2) | instskip(NEXT) | instid1(VALU_DEP_1)
	v_sub_f16_e32 v2, v24, v25
	v_fma_f16 v24, v24, 2.0, -v2
	v_pack_b32_f16 v0, v0, v2
	s_delay_alu instid0(VALU_DEP_2)
	v_pack_b32_f16 v24, v26, v24
	ds_store_2addr_stride64_b32 v58, v24, v1 offset0:43 offset1:46
	v_pack_b32_f16 v1, v4, v3
	v_add_co_u32 v24, vcc_lo, 0x2000, v22
	v_add_co_ci_u32_e32 v25, vcc_lo, 0, v23, vcc_lo
	ds_store_2addr_stride64_b32 v58, v1, v0 offset0:56 offset1:58
	s_waitcnt lgkmcnt(0)
	s_waitcnt_vscnt null, 0x0
	s_barrier
	buffer_gl0_inv
	s_clause 0x7
	global_load_b32 v180, v[80:81], off offset:3544
	global_load_b32 v210, v[80:81], off offset:4056
	;; [unrolled: 1-line block ×8, first 2 shown]
	ds_load_2addr_stride64_b32 v[26:27], v58 offset0:28 offset1:30
	ds_load_2addr_stride64_b32 v[80:81], v58 offset0:32 offset1:34
	;; [unrolled: 1-line block ×3, first 2 shown]
	v_add_co_u32 v22, vcc_lo, 0x3000, v22
	v_add_co_ci_u32_e32 v23, vcc_lo, 0, v23, vcc_lo
	s_waitcnt lgkmcnt(2)
	v_lshrrev_b32_e32 v0, 16, v27
	s_waitcnt vmcnt(5)
	v_lshrrev_b32_e32 v194, 16, v226
	s_waitcnt vmcnt(4)
	;; [unrolled: 2-line block ×3, first 2 shown]
	v_lshrrev_b32_e32 v190, 16, v229
	v_lshrrev_b32_e32 v2, 16, v180
	;; [unrolled: 1-line block ×3, first 2 shown]
	s_waitcnt vmcnt(2)
	v_lshrrev_b32_e32 v189, 16, v231
	s_waitcnt vmcnt(1)
	v_lshrrev_b32_e32 v186, 16, v232
	;; [unrolled: 2-line block ×3, first 2 shown]
	v_mul_f16_e32 v1, v27, v2
	s_waitcnt lgkmcnt(1)
	v_mul_f16_e64 v3, v80, v251
	s_delay_alu instid0(VALU_DEP_2) | instskip(SKIP_2) | instid1(VALU_DEP_2)
	v_fmac_f16_e64 v1, v0, v180
	v_mul_f16_e32 v0, v0, v2
	v_lshrrev_b32_e32 v2, 16, v80
	v_fma_f16 v0, v27, v180, -v0
	ds_load_2addr_stride64_b32 v[27:28], v58 offset1:2
	v_fmac_f16_e64 v3, v2, v210
	v_mul_f16_e64 v2, v2, v251
	s_delay_alu instid0(VALU_DEP_1)
	v_fma_f16 v2, v80, v210, -v2
	s_waitcnt lgkmcnt(0)
	v_lshrrev_b32_e32 v4, 16, v27
	v_sub_f16_e32 v0, v27, v0
	v_lshrrev_b32_e32 v80, 16, v28
	v_sub_f16_e32 v2, v28, v2
	s_delay_alu instid0(VALU_DEP_4) | instskip(NEXT) | instid1(VALU_DEP_4)
	v_sub_f16_e32 v1, v4, v1
	v_fma_f16 v27, v27, 2.0, -v0
	s_delay_alu instid0(VALU_DEP_4) | instskip(NEXT) | instid1(VALU_DEP_4)
	v_sub_f16_e32 v3, v80, v3
	v_fma_f16 v28, v28, 2.0, -v2
	s_delay_alu instid0(VALU_DEP_4) | instskip(SKIP_1) | instid1(VALU_DEP_4)
	v_fma_f16 v4, v4, 2.0, -v1
	v_pack_b32_f16 v0, v0, v1
	v_pack_b32_f16 v2, v2, v3
	s_delay_alu instid0(VALU_DEP_3) | instskip(SKIP_1) | instid1(VALU_DEP_1)
	v_pack_b32_f16 v4, v27, v4
	v_fma_f16 v27, v80, 2.0, -v3
	v_pack_b32_f16 v27, v28, v27
	ds_store_2addr_stride64_b32 v58, v4, v27 offset1:2
	v_lshrrev_b32_e32 v4, 16, v81
	s_delay_alu instid0(VALU_DEP_1) | instskip(NEXT) | instid1(VALU_DEP_1)
	v_mul_f16_e64 v27, v4, v194
	v_fma_f16 v80, v81, v226, -v27
	ds_load_2addr_stride64_b32 v[27:28], v58 offset0:4 offset1:6
	v_mul_f16_e64 v81, v81, v194
	s_delay_alu instid0(VALU_DEP_1) | instskip(SKIP_3) | instid1(VALU_DEP_2)
	v_fmac_f16_e64 v81, v4, v226
	s_waitcnt lgkmcnt(0)
	v_lshrrev_b32_e32 v4, 16, v27
	v_sub_f16_e32 v3, v27, v80
	v_sub_f16_e32 v80, v4, v81
	s_delay_alu instid0(VALU_DEP_1)
	v_pack_b32_f16 v81, v3, v80
	v_fma_f16 v3, v27, 2.0, -v3
	v_lshrrev_b32_e32 v27, 16, v28
	ds_store_2addr_stride64_b32 v58, v2, v81 offset0:32 offset1:34
	v_fma_f16 v2, v4, 2.0, -v80
	ds_load_2addr_stride64_b32 v[80:81], v58 offset0:36 offset1:38
	v_pack_b32_f16 v2, v3, v2
	s_waitcnt lgkmcnt(0)
	v_lshrrev_b32_e32 v4, 16, v80
	v_mul_f16_e64 v82, v80, v192
	s_delay_alu instid0(VALU_DEP_1) | instskip(SKIP_1) | instid1(VALU_DEP_2)
	v_fmac_f16_e64 v82, v4, v227
	v_mul_f16_e64 v4, v4, v192
	v_sub_f16_e32 v3, v27, v82
	s_delay_alu instid0(VALU_DEP_2) | instskip(NEXT) | instid1(VALU_DEP_2)
	v_fma_f16 v4, v80, v227, -v4
	v_fma_f16 v27, v27, 2.0, -v3
	s_delay_alu instid0(VALU_DEP_2) | instskip(NEXT) | instid1(VALU_DEP_1)
	v_sub_f16_e32 v4, v28, v4
	v_fma_f16 v28, v28, 2.0, -v4
	s_delay_alu instid0(VALU_DEP_1) | instskip(SKIP_2) | instid1(VALU_DEP_1)
	v_pack_b32_f16 v27, v28, v27
	ds_store_2addr_stride64_b32 v58, v2, v27 offset0:4 offset1:6
	v_lshrrev_b32_e32 v2, 16, v81
	v_mul_f16_e64 v27, v2, v190
	s_delay_alu instid0(VALU_DEP_1) | instskip(SKIP_2) | instid1(VALU_DEP_1)
	v_fma_f16 v80, v81, v229, -v27
	ds_load_2addr_stride64_b32 v[27:28], v58 offset0:8 offset1:10
	v_mul_f16_e64 v81, v81, v190
	v_fmac_f16_e64 v81, v2, v229
	v_pack_b32_f16 v2, v4, v3
	s_waitcnt lgkmcnt(0)
	v_lshrrev_b32_e32 v4, 16, v27
	v_sub_f16_e32 v3, v27, v80
	s_delay_alu instid0(VALU_DEP_2) | instskip(NEXT) | instid1(VALU_DEP_1)
	v_sub_f16_e32 v80, v4, v81
	v_pack_b32_f16 v81, v3, v80
	v_fma_f16 v3, v27, 2.0, -v3
	v_lshrrev_b32_e32 v27, 16, v28
	ds_store_2addr_stride64_b32 v58, v2, v81 offset0:36 offset1:38
	v_fma_f16 v2, v4, 2.0, -v80
	ds_load_2addr_stride64_b32 v[80:81], v58 offset0:40 offset1:42
	v_pack_b32_f16 v2, v3, v2
	s_waitcnt lgkmcnt(0)
	v_lshrrev_b32_e32 v4, 16, v80
	v_mul_f16_e64 v82, v80, v189
	s_delay_alu instid0(VALU_DEP_1) | instskip(SKIP_1) | instid1(VALU_DEP_2)
	v_fmac_f16_e64 v82, v4, v231
	v_mul_f16_e64 v4, v4, v189
	v_sub_f16_e32 v3, v27, v82
	s_delay_alu instid0(VALU_DEP_2) | instskip(NEXT) | instid1(VALU_DEP_2)
	v_fma_f16 v4, v80, v231, -v4
	v_fma_f16 v27, v27, 2.0, -v3
	s_delay_alu instid0(VALU_DEP_2) | instskip(NEXT) | instid1(VALU_DEP_1)
	v_sub_f16_e32 v4, v28, v4
	v_fma_f16 v28, v28, 2.0, -v4
	s_delay_alu instid0(VALU_DEP_1) | instskip(SKIP_2) | instid1(VALU_DEP_1)
	v_pack_b32_f16 v27, v28, v27
	ds_store_2addr_stride64_b32 v58, v2, v27 offset0:8 offset1:10
	v_lshrrev_b32_e32 v2, 16, v81
	v_mul_f16_e64 v27, v2, v186
	s_delay_alu instid0(VALU_DEP_1) | instskip(SKIP_2) | instid1(VALU_DEP_1)
	v_fma_f16 v80, v81, v232, -v27
	ds_load_2addr_stride64_b32 v[27:28], v58 offset0:12 offset1:14
	v_mul_f16_e64 v81, v81, v186
	v_fmac_f16_e64 v81, v2, v232
	v_pack_b32_f16 v2, v4, v3
	s_waitcnt lgkmcnt(0)
	v_lshrrev_b32_e32 v4, 16, v27
	v_sub_f16_e32 v3, v27, v80
	s_delay_alu instid0(VALU_DEP_2) | instskip(NEXT) | instid1(VALU_DEP_1)
	v_sub_f16_e32 v80, v4, v81
	v_pack_b32_f16 v81, v3, v80
	v_fma_f16 v3, v27, 2.0, -v3
	v_lshrrev_b32_e32 v27, 16, v28
	ds_store_2addr_stride64_b32 v58, v2, v81 offset0:40 offset1:42
	v_fma_f16 v2, v4, 2.0, -v80
	v_lshrrev_b32_e32 v4, 16, v174
	v_mul_f16_e64 v80, v174, v185
	s_delay_alu instid0(VALU_DEP_3) | instskip(NEXT) | instid1(VALU_DEP_2)
	v_pack_b32_f16 v2, v3, v2
	v_fmac_f16_e64 v80, v4, v236
	v_mul_f16_e64 v4, v4, v185
	s_delay_alu instid0(VALU_DEP_2) | instskip(NEXT) | instid1(VALU_DEP_2)
	v_sub_f16_e32 v3, v27, v80
	v_fma_f16 v4, v174, v236, -v4
	s_delay_alu instid0(VALU_DEP_2) | instskip(NEXT) | instid1(VALU_DEP_2)
	v_fma_f16 v27, v27, 2.0, -v3
	v_sub_f16_e32 v4, v28, v4
	s_delay_alu instid0(VALU_DEP_1) | instskip(NEXT) | instid1(VALU_DEP_1)
	v_fma_f16 v28, v28, 2.0, -v4
	v_pack_b32_f16 v27, v28, v27
	ds_store_2addr_stride64_b32 v58, v2, v27 offset0:12 offset1:14
	s_clause 0x6
	global_load_b32 v86, v[24:25], off offset:3544
	global_load_b32 v85, v[24:25], off offset:4056
	;; [unrolled: 1-line block ×7, first 2 shown]
	v_lshrrev_b32_e32 v2, 16, v175
	s_waitcnt vmcnt(4)
	v_lshrrev_b32_e32 v178, 16, v84
	s_waitcnt vmcnt(3)
	v_lshrrev_b32_e32 v177, 16, v83
	v_lshrrev_b32_e32 v184, 16, v86
	;; [unrolled: 1-line block ×3, first 2 shown]
	s_waitcnt vmcnt(2)
	v_lshrrev_b32_e32 v176, 16, v82
	s_waitcnt vmcnt(0)
	v_lshrrev_b32_e32 v174, 16, v80
	v_mul_f16_e64 v22, v2, v184
	v_mul_f16_e64 v25, v175, v184
	s_delay_alu instid0(VALU_DEP_2)
	v_fma_f16 v24, v175, v86, -v22
	ds_load_2addr_stride64_b32 v[22:23], v58 offset0:16 offset1:18
	v_fmac_f16_e32 v25, v2, v86
	v_pack_b32_f16 v2, v4, v3
	v_lshrrev_b32_e32 v175, 16, v81
	s_waitcnt lgkmcnt(0)
	v_lshrrev_b32_e32 v4, 16, v22
	v_sub_f16_e32 v3, v22, v24
	s_delay_alu instid0(VALU_DEP_2) | instskip(NEXT) | instid1(VALU_DEP_1)
	v_sub_f16_e32 v24, v4, v25
	v_pack_b32_f16 v25, v3, v24
	v_fma_f16 v3, v22, 2.0, -v3
	v_lshrrev_b32_e32 v22, 16, v23
	ds_store_2addr_stride64_b32 v58, v2, v25 offset0:44 offset1:46
	v_fma_f16 v2, v4, 2.0, -v24
	ds_load_2addr_stride64_b32 v[24:25], v58 offset0:48 offset1:50
	v_pack_b32_f16 v2, v3, v2
	s_waitcnt lgkmcnt(0)
	v_lshrrev_b32_e32 v4, 16, v24
	v_mul_f16_e64 v27, v24, v179
	s_delay_alu instid0(VALU_DEP_1) | instskip(SKIP_1) | instid1(VALU_DEP_2)
	v_fmac_f16_e32 v27, v4, v85
	v_mul_f16_e64 v4, v4, v179
	v_sub_f16_e32 v3, v22, v27
	s_delay_alu instid0(VALU_DEP_2) | instskip(NEXT) | instid1(VALU_DEP_2)
	v_fma_f16 v4, v24, v85, -v4
	v_fma_f16 v22, v22, 2.0, -v3
	s_delay_alu instid0(VALU_DEP_2) | instskip(NEXT) | instid1(VALU_DEP_1)
	v_sub_f16_e32 v4, v23, v4
	v_fma_f16 v23, v23, 2.0, -v4
	s_delay_alu instid0(VALU_DEP_1) | instskip(SKIP_2) | instid1(VALU_DEP_1)
	v_pack_b32_f16 v22, v23, v22
	ds_store_2addr_stride64_b32 v58, v2, v22 offset0:16 offset1:18
	v_lshrrev_b32_e32 v2, 16, v25
	v_mul_f16_e64 v22, v2, v178
	s_delay_alu instid0(VALU_DEP_1) | instskip(SKIP_2) | instid1(VALU_DEP_1)
	v_fma_f16 v24, v25, v84, -v22
	ds_load_2addr_stride64_b32 v[22:23], v58 offset0:20 offset1:22
	v_mul_f16_e64 v25, v25, v178
	v_fmac_f16_e32 v25, v2, v84
	v_pack_b32_f16 v2, v4, v3
	s_waitcnt lgkmcnt(0)
	v_lshrrev_b32_e32 v4, 16, v22
	v_sub_f16_e32 v3, v22, v24
	s_delay_alu instid0(VALU_DEP_2) | instskip(NEXT) | instid1(VALU_DEP_1)
	v_sub_f16_e32 v24, v4, v25
	v_pack_b32_f16 v25, v3, v24
	v_fma_f16 v3, v22, 2.0, -v3
	v_lshrrev_b32_e32 v22, 16, v23
	ds_store_2addr_stride64_b32 v58, v2, v25 offset0:48 offset1:50
	v_fma_f16 v2, v4, 2.0, -v24
	ds_load_2addr_stride64_b32 v[24:25], v58 offset0:52 offset1:54
	v_pack_b32_f16 v2, v3, v2
	s_waitcnt lgkmcnt(0)
	v_lshrrev_b32_e32 v4, 16, v24
	v_mul_f16_e64 v27, v24, v177
	s_delay_alu instid0(VALU_DEP_1) | instskip(SKIP_1) | instid1(VALU_DEP_2)
	v_fmac_f16_e32 v27, v4, v83
	v_mul_f16_e64 v4, v4, v177
	v_sub_f16_e32 v3, v22, v27
	s_delay_alu instid0(VALU_DEP_2) | instskip(NEXT) | instid1(VALU_DEP_2)
	v_fma_f16 v4, v24, v83, -v4
	v_fma_f16 v22, v22, 2.0, -v3
	s_delay_alu instid0(VALU_DEP_2) | instskip(NEXT) | instid1(VALU_DEP_1)
	v_sub_f16_e32 v4, v23, v4
	v_fma_f16 v23, v23, 2.0, -v4
	s_delay_alu instid0(VALU_DEP_1) | instskip(SKIP_2) | instid1(VALU_DEP_1)
	v_pack_b32_f16 v22, v23, v22
	ds_store_2addr_stride64_b32 v58, v2, v22 offset0:20 offset1:22
	v_lshrrev_b32_e32 v2, 16, v25
	v_mul_f16_e64 v22, v2, v176
	s_delay_alu instid0(VALU_DEP_1) | instskip(SKIP_2) | instid1(VALU_DEP_1)
	v_fma_f16 v24, v25, v82, -v22
	ds_load_2addr_stride64_b32 v[22:23], v58 offset0:24 offset1:26
	v_mul_f16_e64 v25, v25, v176
	v_fmac_f16_e32 v25, v2, v82
	v_pack_b32_f16 v2, v4, v3
	s_waitcnt lgkmcnt(0)
	v_lshrrev_b32_e32 v4, 16, v22
	v_sub_f16_e32 v3, v22, v24
	s_delay_alu instid0(VALU_DEP_2) | instskip(NEXT) | instid1(VALU_DEP_1)
	v_sub_f16_e32 v24, v4, v25
	v_pack_b32_f16 v25, v3, v24
	v_fma_f16 v3, v22, 2.0, -v3
	v_lshrrev_b32_e32 v22, 16, v23
	ds_store_2addr_stride64_b32 v58, v2, v25 offset0:52 offset1:54
	v_fma_f16 v2, v4, 2.0, -v24
	ds_load_2addr_stride64_b32 v[24:25], v58 offset0:56 offset1:58
	v_pack_b32_f16 v2, v3, v2
	s_waitcnt lgkmcnt(0)
	v_lshrrev_b32_e32 v4, 16, v24
	v_mul_f16_e64 v27, v24, v175
	s_delay_alu instid0(VALU_DEP_1) | instskip(SKIP_1) | instid1(VALU_DEP_2)
	v_fmac_f16_e32 v27, v4, v81
	v_mul_f16_e64 v4, v4, v175
	v_sub_f16_e32 v3, v22, v27
	s_delay_alu instid0(VALU_DEP_2) | instskip(NEXT) | instid1(VALU_DEP_2)
	v_fma_f16 v4, v24, v81, -v4
	v_fma_f16 v22, v22, 2.0, -v3
	s_delay_alu instid0(VALU_DEP_2) | instskip(NEXT) | instid1(VALU_DEP_1)
	v_sub_f16_e32 v4, v23, v4
	v_fma_f16 v23, v23, 2.0, -v4
	s_delay_alu instid0(VALU_DEP_1) | instskip(SKIP_3) | instid1(VALU_DEP_1)
	v_pack_b32_f16 v22, v23, v22
	v_mul_f16_e64 v23, v25, v174
	ds_store_2addr_stride64_b32 v58, v2, v22 offset0:24 offset1:26
	v_lshrrev_b32_e32 v2, 16, v25
	v_mul_f16_e64 v22, v2, v174
	v_fmac_f16_e32 v23, v2, v80
	s_delay_alu instid0(VALU_DEP_2) | instskip(NEXT) | instid1(VALU_DEP_1)
	v_fma_f16 v22, v25, v80, -v22
	v_sub_f16_e32 v2, v26, v22
	v_lshrrev_b32_e32 v22, 16, v26
	s_delay_alu instid0(VALU_DEP_2) | instskip(NEXT) | instid1(VALU_DEP_2)
	v_fma_f16 v24, v26, 2.0, -v2
	v_sub_f16_e32 v1, v22, v23
	s_delay_alu instid0(VALU_DEP_1) | instskip(SKIP_1) | instid1(VALU_DEP_2)
	v_fma_f16 v22, v22, 2.0, -v1
	v_pack_b32_f16 v1, v2, v1
	v_pack_b32_f16 v22, v24, v22
	ds_store_2addr_stride64_b32 v58, v22, v0 offset0:28 offset1:30
	v_pack_b32_f16 v0, v4, v3
	ds_store_2addr_stride64_b32 v58, v0, v1 offset0:56 offset1:58
	s_waitcnt lgkmcnt(0)
	s_barrier
	buffer_gl0_inv
	s_clause 0x5
	global_load_b32 v0, v58, s[2:3]
	global_load_b32 v1, v58, s[2:3] offset:512
	global_load_b32 v2, v58, s[2:3] offset:3584
	;; [unrolled: 1-line block ×5, first 2 shown]
	ds_load_2addr_stride64_b32 v[22:23], v58 offset1:2
	s_waitcnt lgkmcnt(0)
	v_lshrrev_b32_e32 v26, 16, v22
	s_waitcnt vmcnt(5)
	v_lshrrev_b32_e32 v25, 16, v0
	s_delay_alu instid0(VALU_DEP_1) | instskip(NEXT) | instid1(VALU_DEP_3)
	v_mul_f16_e32 v27, v22, v25
	v_mul_f16_e32 v25, v26, v25
	s_delay_alu instid0(VALU_DEP_2) | instskip(NEXT) | instid1(VALU_DEP_2)
	v_fmac_f16_e32 v27, v26, v0
	v_fma_f16 v0, v22, v0, -v25
	v_lshrrev_b32_e32 v22, 16, v23
	s_waitcnt vmcnt(4)
	v_lshrrev_b32_e32 v25, 16, v1
	s_delay_alu instid0(VALU_DEP_3) | instskip(NEXT) | instid1(VALU_DEP_2)
	v_pack_b32_f16 v0, v0, v27
	v_mul_f16_e32 v26, v22, v25
	v_mul_f16_e32 v25, v23, v25
	s_delay_alu instid0(VALU_DEP_2) | instskip(NEXT) | instid1(VALU_DEP_2)
	v_fma_f16 v23, v23, v1, -v26
	v_fmac_f16_e32 v25, v22, v1
	s_delay_alu instid0(VALU_DEP_1)
	v_pack_b32_f16 v1, v23, v25
	ds_load_2addr_stride64_b32 v[22:23], v58 offset0:12 offset1:14
	ds_store_2addr_stride64_b32 v58, v0, v1 offset1:2
	global_load_b32 v0, v58, s[2:3] offset:3072
	s_waitcnt lgkmcnt(1)
	v_lshrrev_b32_e32 v25, 16, v22
	s_waitcnt vmcnt(0)
	v_lshrrev_b32_e32 v1, 16, v0
	s_delay_alu instid0(VALU_DEP_1) | instskip(NEXT) | instid1(VALU_DEP_3)
	v_mul_f16_e32 v26, v22, v1
	v_mul_f16_e32 v1, v25, v1
	s_delay_alu instid0(VALU_DEP_2) | instskip(NEXT) | instid1(VALU_DEP_2)
	v_fmac_f16_e32 v26, v25, v0
	v_fma_f16 v0, v22, v0, -v1
	v_lshrrev_b32_e32 v1, 16, v23
	v_lshrrev_b32_e32 v22, 16, v2
	s_delay_alu instid0(VALU_DEP_3) | instskip(NEXT) | instid1(VALU_DEP_2)
	v_pack_b32_f16 v0, v0, v26
	v_mul_f16_e32 v25, v1, v22
	v_mul_f16_e32 v27, v23, v22
	s_delay_alu instid0(VALU_DEP_2) | instskip(NEXT) | instid1(VALU_DEP_2)
	v_fma_f16 v25, v23, v2, -v25
	v_fmac_f16_e32 v27, v1, v2
	s_clause 0x4
	global_load_b32 v1, v234, s[2:3]
	global_load_b32 v2, v29, s[2:3]
	;; [unrolled: 1-line block ×5, first 2 shown]
	ds_load_2addr_stride64_b32 v[22:23], v58 offset0:24 offset1:26
	s_waitcnt lgkmcnt(0)
	v_lshrrev_b32_e32 v196, 16, v22
	s_waitcnt vmcnt(4)
	v_lshrrev_b32_e32 v34, 16, v1
	s_delay_alu instid0(VALU_DEP_1) | instskip(NEXT) | instid1(VALU_DEP_3)
	v_mul_f16_e64 v197, v22, v34
	v_mul_f16_e64 v34, v196, v34
	s_delay_alu instid0(VALU_DEP_2) | instskip(NEXT) | instid1(VALU_DEP_2)
	v_fmac_f16_e64 v197, v196, v1
	v_fma_f16 v1, v22, v1, -v34
	s_clause 0x4
	global_load_b32 v22, v207, s[2:3]
	global_load_b32 v34, v37, s[2:3]
	;; [unrolled: 1-line block ×5, first 2 shown]
	v_lshrrev_b32_e32 v37, 16, v23
	s_waitcnt vmcnt(4)
	v_lshrrev_b32_e32 v196, 16, v22
	s_delay_alu instid0(VALU_DEP_1) | instskip(SKIP_1) | instid1(VALU_DEP_2)
	v_mul_f16_e64 v198, v37, v196
	v_mul_f16_e64 v196, v23, v196
	v_fma_f16 v23, v23, v22, -v198
	s_delay_alu instid0(VALU_DEP_2)
	v_fmac_f16_e64 v196, v37, v22
	v_pack_b32_f16 v22, v25, v27
	ds_store_2addr_stride64_b32 v58, v0, v22 offset0:12 offset1:14
	v_pack_b32_f16 v0, v1, v197
	v_pack_b32_f16 v1, v23, v196
	ds_load_2addr_stride64_b32 v[22:23], v58 offset0:36 offset1:38
	ds_store_2addr_stride64_b32 v58, v0, v1 offset0:24 offset1:26
	global_load_b32 v0, v206, s[2:3]
	s_waitcnt lgkmcnt(1)
	v_lshrrev_b32_e32 v25, 16, v22
	s_waitcnt vmcnt(0)
	v_lshrrev_b32_e32 v1, 16, v0
	s_delay_alu instid0(VALU_DEP_1) | instskip(NEXT) | instid1(VALU_DEP_3)
	v_mul_f16_e32 v26, v22, v1
	v_mul_f16_e32 v1, v25, v1
	s_delay_alu instid0(VALU_DEP_2) | instskip(NEXT) | instid1(VALU_DEP_2)
	v_fmac_f16_e32 v26, v25, v0
	v_fma_f16 v0, v22, v0, -v1
	global_load_b32 v1, v208, s[2:3]
	v_lshrrev_b32_e32 v22, 16, v23
	v_pack_b32_f16 v0, v0, v26
	s_waitcnt vmcnt(0)
	v_lshrrev_b32_e32 v25, 16, v1
	s_delay_alu instid0(VALU_DEP_1) | instskip(SKIP_1) | instid1(VALU_DEP_2)
	v_mul_f16_e32 v27, v22, v25
	v_mul_f16_e32 v25, v23, v25
	v_fma_f16 v27, v23, v1, -v27
	s_delay_alu instid0(VALU_DEP_2)
	v_fmac_f16_e32 v25, v22, v1
	global_load_b32 v1, v209, s[2:3]
	ds_load_2addr_stride64_b32 v[22:23], v58 offset0:48 offset1:50
	s_waitcnt lgkmcnt(0)
	v_lshrrev_b32_e32 v196, 16, v22
	s_waitcnt vmcnt(0)
	v_lshrrev_b32_e32 v37, 16, v1
	s_delay_alu instid0(VALU_DEP_1) | instskip(NEXT) | instid1(VALU_DEP_3)
	v_mul_f16_e64 v197, v22, v37
	v_mul_f16_e64 v37, v196, v37
	s_delay_alu instid0(VALU_DEP_2) | instskip(NEXT) | instid1(VALU_DEP_2)
	v_fmac_f16_e64 v197, v196, v1
	v_fma_f16 v1, v22, v1, -v37
	global_load_b32 v22, v212, s[2:3]
	v_lshrrev_b32_e32 v37, 16, v23
	s_waitcnt vmcnt(0)
	v_lshrrev_b32_e32 v196, 16, v22
	s_delay_alu instid0(VALU_DEP_1) | instskip(SKIP_1) | instid1(VALU_DEP_2)
	v_mul_f16_e64 v198, v37, v196
	v_mul_f16_e64 v196, v23, v196
	v_fma_f16 v23, v23, v22, -v198
	s_delay_alu instid0(VALU_DEP_2)
	v_fmac_f16_e64 v196, v37, v22
	v_pack_b32_f16 v22, v27, v25
	ds_store_2addr_stride64_b32 v58, v0, v22 offset0:36 offset1:38
	v_pack_b32_f16 v0, v1, v197
	v_pack_b32_f16 v1, v23, v196
	ds_load_2addr_stride64_b32 v[22:23], v58 offset0:4 offset1:6
	ds_store_2addr_stride64_b32 v58, v0, v1 offset0:48 offset1:50
	global_load_b32 v0, v58, s[2:3] offset:1536
	s_waitcnt lgkmcnt(1)
	v_lshrrev_b32_e32 v25, 16, v23
	s_waitcnt vmcnt(0)
	v_lshrrev_b32_e32 v1, 16, v0
	s_delay_alu instid0(VALU_DEP_1) | instskip(NEXT) | instid1(VALU_DEP_3)
	v_mul_f16_e32 v26, v23, v1
	v_mul_f16_e32 v1, v25, v1
	s_delay_alu instid0(VALU_DEP_2) | instskip(NEXT) | instid1(VALU_DEP_2)
	v_fmac_f16_e32 v26, v25, v0
	v_fma_f16 v0, v23, v0, -v1
	v_lshrrev_b32_e32 v1, 16, v22
	v_lshrrev_b32_e32 v23, 16, v24
	s_delay_alu instid0(VALU_DEP_3) | instskip(NEXT) | instid1(VALU_DEP_2)
	v_pack_b32_f16 v0, v0, v26
	v_mul_f16_e32 v25, v1, v23
	v_mul_f16_e32 v27, v22, v23
	s_delay_alu instid0(VALU_DEP_2)
	v_fma_f16 v25, v22, v24, -v25
	ds_load_2addr_stride64_b32 v[22:23], v58 offset0:8 offset1:10
	v_fmac_f16_e32 v27, v1, v24
	v_lshrrev_b32_e32 v1, 16, v3
	s_waitcnt lgkmcnt(0)
	v_lshrrev_b32_e32 v24, 16, v22
	s_delay_alu instid0(VALU_DEP_2) | instskip(NEXT) | instid1(VALU_DEP_2)
	v_mul_f16_e32 v37, v22, v1
	v_mul_f16_e32 v1, v24, v1
	s_delay_alu instid0(VALU_DEP_2) | instskip(NEXT) | instid1(VALU_DEP_2)
	v_fmac_f16_e32 v37, v24, v3
	v_fma_f16 v1, v22, v3, -v1
	v_lshrrev_b32_e32 v3, 16, v23
	v_lshrrev_b32_e32 v22, 16, v4
	s_delay_alu instid0(VALU_DEP_1) | instskip(SKIP_1) | instid1(VALU_DEP_2)
	v_mul_f16_e32 v24, v3, v22
	v_mul_f16_e32 v22, v23, v22
	v_fma_f16 v23, v23, v4, -v24
	s_delay_alu instid0(VALU_DEP_2)
	v_fmac_f16_e32 v22, v3, v4
	v_pack_b32_f16 v3, v25, v27
	ds_store_2addr_stride64_b32 v58, v3, v0 offset0:4 offset1:6
	v_pack_b32_f16 v0, v1, v37
	v_pack_b32_f16 v1, v23, v22
	ds_load_2addr_stride64_b32 v[22:23], v58 offset0:16 offset1:18
	ds_store_2addr_stride64_b32 v58, v0, v1 offset0:8 offset1:10
	v_lshrrev_b32_e32 v0, 16, v31
	s_waitcnt lgkmcnt(1)
	v_lshrrev_b32_e32 v1, 16, v23
	s_delay_alu instid0(VALU_DEP_2) | instskip(SKIP_1) | instid1(VALU_DEP_3)
	v_mul_f16_e32 v3, v23, v0
	v_lshrrev_b32_e32 v4, 16, v22
	v_mul_f16_e32 v0, v1, v0
	s_delay_alu instid0(VALU_DEP_3) | instskip(SKIP_2) | instid1(VALU_DEP_1)
	v_fmac_f16_e32 v3, v1, v31
	global_load_b32 v1, v228, s[2:3]
	v_fma_f16 v0, v23, v31, -v0
	v_pack_b32_f16 v0, v0, v3
	s_waitcnt vmcnt(0)
	v_lshrrev_b32_e32 v23, 16, v1
	s_delay_alu instid0(VALU_DEP_1) | instskip(SKIP_1) | instid1(VALU_DEP_2)
	v_mul_f16_e32 v24, v4, v23
	v_mul_f16_e32 v25, v22, v23
	v_fma_f16 v24, v22, v1, -v24
	s_delay_alu instid0(VALU_DEP_2)
	v_fmac_f16_e32 v25, v4, v1
	global_load_b32 v1, v240, s[2:3]
	ds_load_2addr_stride64_b32 v[22:23], v58 offset0:20 offset1:22
	v_pack_b32_f16 v3, v24, v25
	ds_store_2addr_stride64_b32 v58, v3, v0 offset0:16 offset1:18
	s_waitcnt lgkmcnt(1)
	v_lshrrev_b32_e32 v26, 16, v22
	s_waitcnt vmcnt(0)
	v_lshrrev_b32_e32 v4, 16, v1
	s_delay_alu instid0(VALU_DEP_1) | instskip(NEXT) | instid1(VALU_DEP_3)
	v_mul_f16_e32 v27, v22, v4
	v_mul_f16_e32 v4, v26, v4
	s_delay_alu instid0(VALU_DEP_2) | instskip(NEXT) | instid1(VALU_DEP_2)
	v_fmac_f16_e32 v27, v26, v1
	v_fma_f16 v1, v22, v1, -v4
	v_lshrrev_b32_e32 v4, 16, v23
	v_lshrrev_b32_e32 v22, 16, v34
	s_delay_alu instid0(VALU_DEP_3) | instskip(NEXT) | instid1(VALU_DEP_2)
	v_pack_b32_f16 v0, v1, v27
	v_mul_f16_e32 v26, v4, v22
	v_mul_f16_e32 v22, v23, v22
	s_delay_alu instid0(VALU_DEP_2) | instskip(NEXT) | instid1(VALU_DEP_2)
	v_fma_f16 v23, v23, v34, -v26
	v_fmac_f16_e32 v22, v4, v34
	s_delay_alu instid0(VALU_DEP_1)
	v_pack_b32_f16 v1, v23, v22
	ds_load_2addr_stride64_b32 v[22:23], v58 offset0:28 offset1:30
	ds_store_2addr_stride64_b32 v58, v0, v1 offset0:20 offset1:22
	v_lshrrev_b32_e32 v0, 16, v29
	s_waitcnt lgkmcnt(1)
	v_lshrrev_b32_e32 v1, 16, v23
	s_delay_alu instid0(VALU_DEP_2) | instskip(NEXT) | instid1(VALU_DEP_2)
	v_mul_f16_e32 v3, v23, v0
	v_mul_f16_e32 v0, v1, v0
	s_delay_alu instid0(VALU_DEP_2)
	v_fmac_f16_e32 v3, v1, v29
	s_clause 0x5
	global_load_b32 v1, v38, s[2:3]
	global_load_b32 v4, v39, s[2:3]
	;; [unrolled: 1-line block ×6, first 2 shown]
	v_fma_f16 v0, v23, v29, -v0
	v_lshrrev_b32_e32 v23, 16, v22
	s_delay_alu instid0(VALU_DEP_2) | instskip(SKIP_2) | instid1(VALU_DEP_1)
	v_pack_b32_f16 v0, v0, v3
	s_waitcnt vmcnt(5)
	v_lshrrev_b32_e32 v29, 16, v1
	v_mul_f16_e32 v31, v23, v29
	v_mul_f16_e32 v29, v22, v29
	s_delay_alu instid0(VALU_DEP_2) | instskip(NEXT) | instid1(VALU_DEP_2)
	v_fma_f16 v31, v22, v1, -v31
	v_fmac_f16_e32 v29, v23, v1
	ds_load_2addr_stride64_b32 v[22:23], v58 offset0:32 offset1:34
	v_lshrrev_b32_e32 v1, 16, v33
	v_pack_b32_f16 v3, v31, v29
	ds_store_2addr_stride64_b32 v58, v3, v0 offset0:28 offset1:30
	s_waitcnt lgkmcnt(1)
	v_lshrrev_b32_e32 v34, 16, v22
	v_mul_f16_e32 v35, v22, v1
	s_delay_alu instid0(VALU_DEP_2) | instskip(NEXT) | instid1(VALU_DEP_2)
	v_mul_f16_e32 v1, v34, v1
	v_fmac_f16_e32 v35, v34, v33
	s_delay_alu instid0(VALU_DEP_2) | instskip(SKIP_3) | instid1(VALU_DEP_3)
	v_fma_f16 v1, v22, v33, -v1
	v_lshrrev_b32_e32 v22, 16, v23
	s_waitcnt vmcnt(4)
	v_lshrrev_b32_e32 v33, 16, v4
	v_pack_b32_f16 v0, v1, v35
	s_delay_alu instid0(VALU_DEP_2) | instskip(SKIP_1) | instid1(VALU_DEP_2)
	v_mul_f16_e32 v34, v22, v33
	v_mul_f16_e32 v33, v23, v33
	v_fma_f16 v23, v23, v4, -v34
	s_delay_alu instid0(VALU_DEP_2) | instskip(SKIP_2) | instid1(VALU_DEP_2)
	v_fmac_f16_e32 v33, v22, v4
	s_waitcnt vmcnt(3)
	v_lshrrev_b32_e32 v4, 16, v24
	v_pack_b32_f16 v1, v23, v33
	ds_load_2addr_stride64_b32 v[22:23], v58 offset0:40 offset1:42
	ds_store_2addr_stride64_b32 v58, v0, v1 offset0:32 offset1:34
	v_lshrrev_b32_e32 v0, 16, v28
	s_waitcnt lgkmcnt(1)
	v_lshrrev_b32_e32 v1, 16, v23
	s_delay_alu instid0(VALU_DEP_2) | instskip(NEXT) | instid1(VALU_DEP_2)
	v_mul_f16_e32 v3, v23, v0
	v_mul_f16_e32 v0, v1, v0
	s_delay_alu instid0(VALU_DEP_2) | instskip(SKIP_1) | instid1(VALU_DEP_3)
	v_fmac_f16_e32 v3, v1, v28
	v_lshrrev_b32_e32 v1, 16, v22
	v_fma_f16 v0, v23, v28, -v0
	s_delay_alu instid0(VALU_DEP_2) | instskip(SKIP_1) | instid1(VALU_DEP_3)
	v_mul_f16_e32 v23, v1, v4
	v_mul_f16_e32 v4, v22, v4
	v_pack_b32_f16 v0, v0, v3
	s_delay_alu instid0(VALU_DEP_3) | instskip(SKIP_3) | instid1(VALU_DEP_2)
	v_fma_f16 v28, v22, v24, -v23
	ds_load_2addr_stride64_b32 v[22:23], v58 offset0:44 offset1:46
	v_fmac_f16_e32 v4, v1, v24
	v_lshrrev_b32_e32 v1, 16, v32
	v_pack_b32_f16 v3, v28, v4
	ds_store_2addr_stride64_b32 v58, v3, v0 offset0:40 offset1:42
	s_waitcnt lgkmcnt(1)
	v_lshrrev_b32_e32 v24, 16, v22
	v_mul_f16_e32 v29, v22, v1
	s_delay_alu instid0(VALU_DEP_2) | instskip(NEXT) | instid1(VALU_DEP_2)
	v_mul_f16_e32 v1, v24, v1
	v_fmac_f16_e32 v29, v24, v32
	s_waitcnt vmcnt(2)
	v_lshrrev_b32_e32 v24, 16, v25
	s_delay_alu instid0(VALU_DEP_3) | instskip(SKIP_1) | instid1(VALU_DEP_2)
	v_fma_f16 v1, v22, v32, -v1
	v_lshrrev_b32_e32 v22, 16, v23
	v_pack_b32_f16 v0, v1, v29
	s_delay_alu instid0(VALU_DEP_2) | instskip(SKIP_1) | instid1(VALU_DEP_2)
	v_mul_f16_e32 v31, v22, v24
	v_mul_f16_e32 v24, v23, v24
	v_fma_f16 v23, v23, v25, -v31
	s_delay_alu instid0(VALU_DEP_2) | instskip(NEXT) | instid1(VALU_DEP_1)
	v_fmac_f16_e32 v24, v22, v25
	v_pack_b32_f16 v1, v23, v24
	ds_load_2addr_stride64_b32 v[22:23], v58 offset0:52 offset1:54
	ds_store_2addr_stride64_b32 v58, v0, v1 offset0:44 offset1:46
	v_lshrrev_b32_e32 v0, 16, v2
	s_waitcnt lgkmcnt(1)
	v_lshrrev_b32_e32 v1, 16, v23
	s_delay_alu instid0(VALU_DEP_2) | instskip(NEXT) | instid1(VALU_DEP_2)
	v_mul_f16_e32 v3, v23, v0
	v_mul_f16_e32 v0, v1, v0
	s_delay_alu instid0(VALU_DEP_2) | instskip(SKIP_1) | instid1(VALU_DEP_3)
	v_fmac_f16_e32 v3, v1, v2
	v_lshrrev_b32_e32 v1, 16, v22
	v_fma_f16 v0, v23, v2, -v0
	s_waitcnt vmcnt(1)
	v_lshrrev_b32_e32 v2, 16, v26
	s_delay_alu instid0(VALU_DEP_2) | instskip(NEXT) | instid1(VALU_DEP_2)
	v_pack_b32_f16 v0, v0, v3
	v_mul_f16_e32 v4, v1, v2
	v_mul_f16_e32 v2, v22, v2
	s_delay_alu instid0(VALU_DEP_2) | instskip(SKIP_3) | instid1(VALU_DEP_2)
	v_fma_f16 v4, v22, v26, -v4
	ds_load_2addr_stride64_b32 v[22:23], v58 offset0:56 offset1:58
	v_fmac_f16_e32 v2, v1, v26
	v_lshrrev_b32_e32 v1, 16, v30
	v_pack_b32_f16 v2, v4, v2
	ds_store_2addr_stride64_b32 v58, v2, v0 offset0:52 offset1:54
	s_waitcnt lgkmcnt(1)
	v_lshrrev_b32_e32 v24, 16, v22
	v_mul_f16_e32 v25, v22, v1
	s_delay_alu instid0(VALU_DEP_2) | instskip(NEXT) | instid1(VALU_DEP_2)
	v_mul_f16_e32 v1, v24, v1
	v_fmac_f16_e32 v25, v24, v30
	s_waitcnt vmcnt(0)
	v_lshrrev_b32_e32 v24, 16, v27
	s_delay_alu instid0(VALU_DEP_3) | instskip(SKIP_1) | instid1(VALU_DEP_2)
	v_fma_f16 v1, v22, v30, -v1
	v_lshrrev_b32_e32 v22, 16, v23
	v_pack_b32_f16 v0, v1, v25
	s_delay_alu instid0(VALU_DEP_2) | instskip(SKIP_1) | instid1(VALU_DEP_2)
	v_mul_f16_e32 v26, v22, v24
	v_mul_f16_e32 v24, v23, v24
	v_fma_f16 v23, v23, v27, -v26
	s_delay_alu instid0(VALU_DEP_2) | instskip(NEXT) | instid1(VALU_DEP_1)
	v_fmac_f16_e32 v24, v22, v27
	v_pack_b32_f16 v1, v23, v24
	ds_store_2addr_stride64_b32 v58, v0, v1 offset0:56 offset1:58
	s_waitcnt lgkmcnt(0)
	s_barrier
	buffer_gl0_inv
	ds_load_2addr_stride64_b32 v[34:35], v58 offset0:36 offset1:38
	ds_load_2addr_stride64_b32 v[32:33], v58 offset0:48 offset1:50
	;; [unrolled: 1-line block ×4, first 2 shown]
	ds_load_2addr_stride64_b32 v[36:37], v58 offset1:2
	ds_load_2addr_stride64_b32 v[24:25], v58 offset0:40 offset1:42
	ds_load_2addr_stride64_b32 v[22:23], v58 offset0:52 offset1:54
	;; [unrolled: 1-line block ×5, first 2 shown]
	s_waitcnt lgkmcnt(9)
	v_lshrrev_b32_e32 v199, 16, v34
	s_waitcnt lgkmcnt(8)
	v_sub_f16_e32 v0, v34, v32
	s_waitcnt lgkmcnt(6)
	v_sub_f16_e32 v1, v40, v38
	v_lshrrev_b32_e32 v212, 16, v40
	v_lshrrev_b32_e32 v201, 16, v38
	;; [unrolled: 1-line block ×3, first 2 shown]
	s_waitcnt lgkmcnt(5)
	v_lshrrev_b32_e32 v255, 16, v36
	v_add_f16_e32 v0, v1, v0
	v_add_f16_e32 v1, v38, v32
	v_sub_f16_e64 v250, v212, v199
	v_sub_f16_e64 v248, v201, v202
	;; [unrolled: 1-line block ×4, first 2 shown]
	v_fma_f16 v4, -0.5, v1, v36
	v_sub_f16_e64 v1, v199, v202
	s_waitcnt lgkmcnt(1)
	v_lshrrev_b32_e32 v207, 16, v31
	v_lshrrev_b32_e32 v208, 16, v25
	;; [unrolled: 1-line block ×3, first 2 shown]
	v_fma_f16 v246, 0x3b9c, v250, v4
	v_fmac_f16_e64 v4, 0xbb9c, v250
	v_lshrrev_b32_e32 v196, 16, v23
	v_sub_f16_e64 v238, v207, v208
	s_waitcnt lgkmcnt(0)
	v_lshrrev_b32_e32 v3, 16, v27
	v_fmac_f16_e64 v246, 0xb8b4, v248
	v_fmac_f16_e64 v4, 0x38b4, v248
	v_sub_f16_e64 v234, v198, v196
	v_sub_f16_e64 v197, v208, v196
	;; [unrolled: 1-line block ×3, first 2 shown]
	v_fmac_f16_e64 v246, 0x34f2, v0
	v_fmac_f16_e32 v4, 0x34f2, v0
	v_add_f16_e64 v0, v212, v199
	v_sub_f16_e64 v206, v29, v23
	s_delay_alu instid0(VALU_DEP_2) | instskip(SKIP_1) | instid1(VALU_DEP_1)
	v_fma_f16 v253, -0.5, v0, v255
	v_add_f16_e64 v0, v201, v202
	v_fmac_f16_e64 v255, -0.5, v0
	v_sub_f16_e64 v0, v212, v201
	s_delay_alu instid0(VALU_DEP_2) | instskip(SKIP_1) | instid1(VALU_DEP_3)
	v_fma_f16 v240, 0xbb9c, v242, v255
	v_fmac_f16_e64 v255, 0x3b9c, v242
	v_add_f16_e32 v0, v0, v1
	v_sub_f16_e32 v1, v31, v29
	s_delay_alu instid0(VALU_DEP_4) | instskip(NEXT) | instid1(VALU_DEP_4)
	v_fmac_f16_e64 v240, 0x38b4, v244
	v_fmac_f16_e64 v255, 0xb8b4, v244
	s_delay_alu instid0(VALU_DEP_2) | instskip(NEXT) | instid1(VALU_DEP_2)
	v_fmac_f16_e64 v240, 0x34f2, v0
	v_fmac_f16_e64 v255, 0x34f2, v0
	v_sub_f16_e32 v0, v25, v23
	s_delay_alu instid0(VALU_DEP_1) | instskip(SKIP_1) | instid1(VALU_DEP_1)
	v_add_f16_e32 v0, v1, v0
	v_add_f16_e32 v1, v29, v23
	v_fma_f16 v1, -0.5, v1, v27
	s_delay_alu instid0(VALU_DEP_1) | instskip(SKIP_1) | instid1(VALU_DEP_2)
	v_fma_f16 v2, 0x3b9c, v238, v1
	v_fmac_f16_e64 v1, 0xbb9c, v238
	v_fmac_f16_e64 v2, 0xb8b4, v234
	s_delay_alu instid0(VALU_DEP_2) | instskip(NEXT) | instid1(VALU_DEP_2)
	v_fmac_f16_e64 v1, 0x38b4, v234
	v_fmac_f16_e32 v2, 0x34f2, v0
	s_delay_alu instid0(VALU_DEP_2) | instskip(SKIP_1) | instid1(VALU_DEP_1)
	v_fmac_f16_e32 v1, 0x34f2, v0
	v_add_f16_e64 v0, v207, v208
	v_fma_f16 v200, -0.5, v0, v3
	v_add_f16_e64 v0, v198, v196
	v_sub_f16_e64 v196, v196, v208
	v_fma_f16 v208, 0x3b9c, v244, v253
	v_fmac_f16_e64 v253, 0xbb9c, v244
	s_delay_alu instid0(VALU_DEP_4) | instskip(SKIP_1) | instid1(VALU_DEP_4)
	v_fmac_f16_e32 v3, -0.5, v0
	v_sub_f16_e64 v0, v207, v198
	v_fmac_f16_e64 v208, 0x38b4, v242
	s_delay_alu instid0(VALU_DEP_4) | instskip(NEXT) | instid1(VALU_DEP_3)
	v_fmac_f16_e64 v253, 0xb8b4, v242
	v_add_f16_e64 v0, v0, v197
	v_fma_f16 v197, 0xbb9c, v205, v3
	v_fmac_f16_e64 v3, 0x3b9c, v205
	s_delay_alu instid0(VALU_DEP_2) | instskip(NEXT) | instid1(VALU_DEP_2)
	v_fmac_f16_e64 v197, 0x38b4, v206
	v_fmac_f16_e64 v3, 0xb8b4, v206
	s_delay_alu instid0(VALU_DEP_2) | instskip(NEXT) | instid1(VALU_DEP_2)
	v_fmac_f16_e64 v197, 0x34f2, v0
	v_fmac_f16_e32 v3, 0x34f2, v0
	s_delay_alu instid0(VALU_DEP_2) | instskip(NEXT) | instid1(VALU_DEP_2)
	v_mul_f16_e64 v209, 0xbb9c, v197
	v_mul_f16_e64 v228, 0xbb9c, v3
	;; [unrolled: 1-line block ×4, first 2 shown]
	s_delay_alu instid0(VALU_DEP_4) | instskip(NEXT) | instid1(VALU_DEP_4)
	v_fmac_f16_e64 v209, 0x34f2, v2
	v_fmac_f16_e64 v228, 0xb4f2, v1
	s_delay_alu instid0(VALU_DEP_4) | instskip(NEXT) | instid1(VALU_DEP_4)
	v_fmac_f16_e64 v204, 0x3b9c, v1
	v_fmac_f16_e64 v197, 0x3b9c, v2
	s_delay_alu instid0(VALU_DEP_3) | instskip(NEXT) | instid1(VALU_DEP_3)
	v_add_f16_e64 v0, v4, v228
	v_add_f16_e64 v1, v255, v204
	s_delay_alu instid0(VALU_DEP_1) | instskip(SKIP_3) | instid1(VALU_DEP_2)
	v_pack_b32_f16 v3, v0, v1
	v_add_f16_e64 v0, v246, v209
	v_add_f16_e64 v1, v240, v197
	v_sub_f16_e64 v197, v240, v197
	v_pack_b32_f16 v2, v0, v1
	v_sub_f16_e64 v0, v201, v212
	v_sub_f16_e64 v1, v202, v199
	;; [unrolled: 1-line block ×4, first 2 shown]
	s_delay_alu instid0(VALU_DEP_3) | instskip(SKIP_1) | instid1(VALU_DEP_3)
	v_add_f16_e32 v0, v0, v1
	v_sub_f16_e64 v1, v198, v207
	v_add_f16_e64 v199, v201, v199
	v_sub_f16_e64 v198, v23, v25
	v_sub_f16_e64 v201, v29, v31
	v_add_f16_e64 v207, v40, v34
	v_add_f16_e64 v1, v1, v196
	;; [unrolled: 1-line block ×3, first 2 shown]
	v_fmac_f16_e64 v208, 0x34f2, v0
	v_add_f16_e64 v198, v201, v198
	v_fmac_f16_e64 v253, 0x34f2, v0
	v_pk_add_f16 v0, v36, v38
	v_fma_f16 v201, -0.5, v196, v27
	v_fma_f16 v196, 0x3b9c, v206, v200
	v_fmac_f16_e64 v200, 0xbb9c, v206
	v_pk_add_f16 v27, v27, v29
	v_pk_add_f16 v0, v0, v40
	v_fma_f16 v202, 0xbb9c, v234, v201
	v_fmac_f16_e64 v196, 0x38b4, v205
	v_fmac_f16_e64 v201, 0x3b9c, v234
	;; [unrolled: 1-line block ×3, first 2 shown]
	v_pk_add_f16 v27, v27, v31
	v_fmac_f16_e64 v202, 0xb8b4, v238
	v_fmac_f16_e64 v196, 0x34f2, v1
	;; [unrolled: 1-line block ×4, first 2 shown]
	v_pk_add_f16 v0, v0, v34
	v_fmac_f16_e64 v202, 0x34f2, v198
	v_mul_f16_e64 v203, 0xb8b4, v196
	v_fmac_f16_e64 v201, 0x34f2, v198
	v_mul_f16_e64 v234, 0xba79, v200
	v_pk_add_f16 v25, v27, v25
	v_pk_add_f16 v0, v0, v32
	v_fmac_f16_e64 v203, 0x3a79, v202
	v_mul_f16_e64 v202, 0x38b4, v202
	v_fmac_f16_e64 v234, 0x38b4, v201
	v_pk_add_f16 v23, v25, v23
	v_sub_f16_e32 v25, v35, v33
	v_sub_f16_e32 v27, v41, v35
	v_fmac_f16_e64 v202, 0x3a79, v196
	v_sub_f16_e64 v196, v246, v209
	v_fma_f16 v209, -0.5, v207, v36
	v_pk_add_f16 v31, v0, v23
	v_lshrrev_b32_e32 v29, 16, v41
	v_sub_f16_e64 v212, v208, v202
	v_pack_b32_f16 v197, v196, v197
	v_fma_f16 v207, 0xbb9c, v248, v209
	v_fmac_f16_e64 v209, 0x3b9c, v248
	v_add_f16_e64 v1, v208, v202
	v_lshrrev_b32_e32 v34, 16, v39
	v_sub_f16_e32 v36, v39, v33
	v_fmac_f16_e64 v207, 0xb8b4, v250
	v_fmac_f16_e64 v209, 0x38b4, v250
	s_delay_alu instid0(VALU_DEP_2) | instskip(NEXT) | instid1(VALU_DEP_2)
	v_fmac_f16_e64 v207, 0x34f2, v199
	v_fmac_f16_e64 v209, 0x34f2, v199
	v_pk_add_f16 v199, v0, v23 neg_lo:[0,1] neg_hi:[0,1]
	v_sub_f16_e64 v23, v255, v204
	s_delay_alu instid0(VALU_DEP_4) | instskip(SKIP_1) | instid1(VALU_DEP_2)
	v_sub_f16_e64 v196, v207, v203
	v_add_f16_e64 v203, v207, v203
	v_pack_b32_f16 v196, v196, v212
	v_mul_f16_e64 v212, 0xb8b4, v200
	s_delay_alu instid0(VALU_DEP_3) | instskip(SKIP_1) | instid1(VALU_DEP_3)
	v_pack_b32_f16 v32, v203, v1
	v_add_f16_e64 v1, v253, v234
	v_fmac_f16_e64 v212, 0xba79, v201
	s_delay_alu instid0(VALU_DEP_1) | instskip(NEXT) | instid1(VALU_DEP_1)
	v_add_f16_e64 v0, v209, v212
	v_pack_b32_f16 v198, v0, v1
	ds_load_2addr_stride64_b32 v[200:201], v58 offset0:8 offset1:10
	ds_load_2addr_stride64_b32 v[205:206], v58 offset0:20 offset1:22
	ds_load_2addr_stride64_b32 v[207:208], v58 offset0:32 offset1:34
	ds_load_2addr_stride64_b32 v[202:203], v58 offset0:44 offset1:46
	ds_load_2addr_stride64_b32 v[0:1], v58 offset0:56 offset1:58
	s_waitcnt lgkmcnt(0)
	s_barrier
	buffer_gl0_inv
	ds_store_2addr_b64 v114, v[31:32], v[2:3] offset1:1
	ds_store_2addr_b64 v114, v[198:199], v[196:197] offset0:2 offset1:3
	v_sub_f16_e64 v2, v4, v228
	v_sub_f16_e64 v3, v209, v212
	;; [unrolled: 1-line block ×3, first 2 shown]
	v_sub_f16_e32 v32, v41, v39
	v_sub_f16_e32 v31, v39, v41
	v_pack_b32_f16 v2, v2, v23
	v_sub_f16_e32 v23, v33, v35
	v_pack_b32_f16 v3, v3, v4
	v_lshrrev_b32_e32 v4, 16, v35
	v_lshrrev_b32_e32 v228, 16, v200
	ds_store_b64 v114, v[2:3] offset:32
	v_pk_add_f16 v2, v37, v39
	v_add_f16_e32 v3, v41, v35
	v_lshrrev_b32_e32 v196, 16, v207
	v_lshrrev_b32_e32 v197, 16, v202
	;; [unrolled: 1-line block ×3, first 2 shown]
	v_pk_add_f16 v2, v2, v41
	v_fma_f16 v40, -0.5, v3, v37
	v_lshrrev_b32_e32 v209, 16, v0
	v_sub_f16_e64 v198, v196, v197
	v_sub_f16_e64 v242, v205, v0
	v_pk_add_f16 v2, v2, v35
	v_add_f16_e32 v35, v39, v33
	v_sub_f16_e64 v212, v204, v209
	v_sub_f16_e64 v238, v197, v209
	v_add_f16_e32 v23, v31, v23
	v_pk_add_f16 v38, v2, v33
	v_lshrrev_b32_e32 v33, 16, v33
	v_add_f16_e32 v2, v32, v25
	v_fma_f16 v25, -0.5, v35, v37
	v_sub_f16_e32 v35, v29, v4
	v_lshrrev_b32_e32 v37, 16, v37
	v_sub_f16_e32 v39, v34, v33
	v_sub_f16_e32 v3, v4, v33
	v_sub_f16_e64 v31, v209, v197
	v_fmamk_f16 v32, v35, 0x3b9c, v25
	v_fmac_f16_e32 v25, 0xbb9c, v35
	s_delay_alu instid0(VALU_DEP_2) | instskip(NEXT) | instid1(VALU_DEP_2)
	v_fmac_f16_e32 v32, 0xb8b4, v39
	v_fmac_f16_e32 v25, 0x38b4, v39
	s_delay_alu instid0(VALU_DEP_2) | instskip(NEXT) | instid1(VALU_DEP_2)
	v_fmac_f16_e32 v32, 0x34f2, v2
	v_fmac_f16_e32 v25, 0x34f2, v2
	v_add_f16_e32 v2, v29, v4
	v_sub_f16_e32 v4, v33, v4
	s_delay_alu instid0(VALU_DEP_2) | instskip(SKIP_2) | instid1(VALU_DEP_2)
	v_fma_f16 v41, -0.5, v2, v37
	v_add_f16_e32 v2, v34, v33
	v_sub_f16_e64 v33, v0, v202
	v_fmac_f16_e32 v37, -0.5, v2
	v_sub_f16_e32 v2, v29, v34
	v_sub_f16_e32 v29, v34, v29
	v_sub_f16_e64 v34, v205, v207
	s_delay_alu instid0(VALU_DEP_4)
	v_fmamk_f16 v114, v27, 0xbb9c, v37
	v_fmac_f16_e32 v37, 0x3b9c, v27
	v_add_f16_e32 v2, v2, v3
	v_sub_f16_e64 v3, v207, v205
	v_add_f16_e32 v4, v29, v4
	v_fmac_f16_e32 v114, 0x38b4, v36
	v_fmac_f16_e32 v37, 0xb8b4, v36
	v_sub_f16_e64 v29, v204, v196
	v_add_f16_e32 v33, v34, v33
	s_delay_alu instid0(VALU_DEP_4) | instskip(NEXT) | instid1(VALU_DEP_4)
	v_fmac_f16_e32 v114, 0x34f2, v2
	v_fmac_f16_e32 v37, 0x34f2, v2
	v_sub_f16_e64 v2, v202, v0
	v_add_f16_e32 v29, v29, v31
	v_add_f16_e64 v31, v207, v202
	s_delay_alu instid0(VALU_DEP_3) | instskip(SKIP_1) | instid1(VALU_DEP_3)
	v_add_f16_e32 v2, v3, v2
	v_add_f16_e64 v3, v205, v0
	v_fma_f16 v34, -0.5, v31, v200
	s_delay_alu instid0(VALU_DEP_2) | instskip(NEXT) | instid1(VALU_DEP_1)
	v_fma_f16 v3, -0.5, v3, v200
	v_fma_f16 v199, 0x3b9c, v198, v3
	v_fmac_f16_e64 v3, 0xbb9c, v198
	s_delay_alu instid0(VALU_DEP_2) | instskip(NEXT) | instid1(VALU_DEP_2)
	v_fmac_f16_e64 v199, 0xb8b4, v212
	v_fmac_f16_e64 v3, 0x38b4, v212
	s_delay_alu instid0(VALU_DEP_2) | instskip(NEXT) | instid1(VALU_DEP_2)
	v_fmac_f16_e64 v199, 0x34f2, v2
	v_fmac_f16_e32 v3, 0x34f2, v2
	v_add_f16_e64 v2, v196, v197
	s_delay_alu instid0(VALU_DEP_1) | instskip(SKIP_1) | instid1(VALU_DEP_2)
	v_fma_f16 v234, -0.5, v2, v228
	v_add_f16_e64 v2, v204, v209
	v_fma_f16 v31, 0x3b9c, v242, v234
	s_delay_alu instid0(VALU_DEP_2) | instskip(SKIP_4) | instid1(VALU_DEP_4)
	v_fmac_f16_e64 v228, -0.5, v2
	v_sub_f16_e64 v2, v196, v204
	v_fma_f16 v196, 0xbb9c, v212, v34
	v_fmac_f16_e64 v234, 0xbb9c, v242
	v_fmac_f16_e64 v34, 0x3b9c, v212
	v_add_f16_e64 v2, v2, v238
	v_sub_f16_e64 v238, v207, v202
	v_fmac_f16_e64 v196, 0xb8b4, v198
	s_delay_alu instid0(VALU_DEP_4) | instskip(SKIP_1) | instid1(VALU_DEP_4)
	v_fmac_f16_e64 v34, 0x38b4, v198
	v_sub_f16_e64 v198, v206, v1
	v_fma_f16 v240, 0xbb9c, v238, v228
	v_fmac_f16_e64 v228, 0x3b9c, v238
	v_fmac_f16_e64 v31, 0x38b4, v238
	;; [unrolled: 1-line block ×6, first 2 shown]
	v_fmac_f16_e32 v31, 0x34f2, v29
	v_fmac_f16_e32 v34, 0x34f2, v33
	v_fmac_f16_e64 v234, 0x34f2, v29
	v_fmac_f16_e64 v240, 0x34f2, v2
	;; [unrolled: 1-line block ×3, first 2 shown]
	v_mul_f16_e64 v197, 0xb8b4, v31
	v_pk_add_f16 v29, v200, v205
	v_lshrrev_b32_e32 v200, 16, v1
	v_mul_f16_e64 v246, 0xbb9c, v240
	v_mul_f16_e64 v244, 0xbb9c, v228
	;; [unrolled: 1-line block ×4, first 2 shown]
	v_fmac_f16_e64 v197, 0x3a79, v196
	v_fmac_f16_e64 v246, 0x34f2, v199
	;; [unrolled: 1-line block ×5, first 2 shown]
	v_mul_f16_e64 v196, 0x38b4, v196
	v_pk_add_f16 v29, v29, v207
	v_add_f16_e64 v2, v25, v244
	v_add_f16_e64 v3, v37, v228
	;; [unrolled: 1-line block ×3, first 2 shown]
	v_fmac_f16_e64 v196, 0x3a79, v31
	v_sub_f16_e64 v31, v32, v246
	v_pk_add_f16 v29, v29, v202
	v_pack_b32_f16 v3, v2, v3
	v_add_f16_e64 v2, v32, v246
	v_sub_f16_e64 v32, v114, v240
	v_fmamk_f16 v114, v39, 0xbb9c, v40
	v_fmac_f16_e32 v40, 0x3b9c, v39
	v_pk_add_f16 v0, v29, v0
	v_pack_b32_f16 v2, v2, v199
	v_fma_f16 v199, 0x3b9c, v36, v41
	v_fmac_f16_e32 v41, 0xbb9c, v36
	v_fmac_f16_e32 v114, 0xb8b4, v35
	;; [unrolled: 1-line block ×3, first 2 shown]
	v_pack_b32_f16 v32, v31, v32
	v_fmac_f16_e64 v199, 0x38b4, v27
	v_fmac_f16_e32 v41, 0xb8b4, v27
	v_fmac_f16_e32 v114, 0x34f2, v23
	;; [unrolled: 1-line block ×3, first 2 shown]
	v_mul_f16_e64 v23, 0xba79, v234
	v_fmac_f16_e64 v199, 0x34f2, v4
	v_fmac_f16_e32 v41, 0x34f2, v4
	v_mul_f16_e64 v4, 0xb8b4, v234
	v_add_f16_e64 v36, v114, v197
	v_fmac_f16_e32 v23, 0x38b4, v34
	v_add_f16_e64 v27, v199, v196
	v_sub_f16_e64 v31, v114, v197
	v_fmac_f16_e32 v4, 0xba79, v34
	v_sub_f16_e64 v204, v199, v196
	v_pk_add_f16 v33, v38, v0
	v_pack_b32_f16 v34, v36, v27
	v_pk_add_f16 v36, v38, v0 neg_lo:[0,1] neg_hi:[0,1]
	v_add_f16_e32 v0, v40, v4
	v_add_f16_e32 v27, v41, v23
	v_pack_b32_f16 v31, v31, v204
	v_sub_f16_e32 v29, v30, v28
	v_sub_f16_e64 v39, v203, v1
	v_add_f16_e64 v197, v206, v1
	v_pack_b32_f16 v35, v0, v27
	ds_store_2addr_b64 v115, v[33:34], v[2:3] offset1:1
	ds_store_2addr_b64 v115, v[35:36], v[31:32] offset0:2 offset1:3
	v_sub_f16_e64 v0, v25, v244
	v_sub_f16_e32 v2, v40, v4
	v_sub_f16_e32 v3, v41, v23
	v_sub_f16_e64 v4, v37, v228
	v_sub_f16_e32 v23, v24, v22
	v_lshrrev_b32_e32 v25, 16, v30
	v_add_f16_e32 v31, v28, v22
	v_pack_b32_f16 v3, v2, v3
	v_pack_b32_f16 v2, v0, v4
	v_pk_add_f16 v0, v26, v28
	v_sub_f16_e32 v4, v22, v24
	v_sub_f16_e32 v27, v28, v30
	v_lshrrev_b32_e32 v37, 16, v203
	ds_store_b64 v115, v[2:3] offset:32
	v_pk_add_f16 v0, v0, v30
	v_lshrrev_b32_e32 v3, 16, v24
	v_add_f16_e32 v2, v30, v24
	v_lshrrev_b32_e32 v41, 16, v208
	v_sub_f16_e64 v115, v208, v206
	v_pk_add_f16 v0, v0, v24
	v_sub_f16_e32 v24, v30, v24
	v_lshrrev_b32_e32 v30, 16, v28
	v_sub_f16_e32 v28, v28, v22
	v_fma_f16 v34, -0.5, v2, v26
	v_pk_add_f16 v32, v0, v22
	v_lshrrev_b32_e32 v22, 16, v22
	v_add_f16_e32 v0, v29, v23
	v_fma_f16 v29, -0.5, v31, v26
	v_sub_f16_e32 v23, v25, v3
	v_lshrrev_b32_e32 v26, 16, v26
	v_sub_f16_e32 v33, v30, v22
	v_sub_f16_e32 v2, v3, v22
	v_sub_f16_e64 v38, v1, v203
	v_fmamk_f16 v31, v23, 0x3b9c, v29
	v_fmac_f16_e32 v29, 0xbb9c, v23
	v_lshrrev_b32_e32 v196, 16, v206
	v_add_f16_e64 v36, v208, v203
	v_sub_f16_e64 v40, v208, v203
	v_fmac_f16_e32 v31, 0xb8b4, v33
	v_fmac_f16_e32 v29, 0x38b4, v33
	v_add_f16_e64 v202, v196, v200
	v_fma_f16 v36, -0.5, v36, v201
	v_sub_f16_e64 v114, v206, v208
	v_fmac_f16_e32 v31, 0x34f2, v0
	v_fmac_f16_e32 v29, 0x34f2, v0
	v_add_f16_e32 v0, v25, v3
	v_sub_f16_e32 v3, v22, v3
	v_add_f16_e32 v4, v27, v4
	v_add_f16_e32 v27, v114, v38
	s_delay_alu instid0(VALU_DEP_4) | instskip(SKIP_2) | instid1(VALU_DEP_3)
	v_fma_f16 v35, -0.5, v0, v26
	v_add_f16_e32 v0, v30, v22
	v_sub_f16_e64 v22, v196, v41
	v_fmamk_f16 v38, v28, 0x3b9c, v35
	s_delay_alu instid0(VALU_DEP_3)
	v_fmac_f16_e32 v26, -0.5, v0
	v_sub_f16_e32 v0, v25, v30
	v_sub_f16_e32 v25, v30, v25
	v_sub_f16_e64 v30, v200, v37
	v_fmac_f16_e32 v38, 0x38b4, v24
	v_fmac_f16_e32 v35, 0xbb9c, v28
	v_add_f16_e32 v0, v0, v2
	v_fmamk_f16 v2, v24, 0xbb9c, v26
	v_fmac_f16_e32 v26, 0x3b9c, v24
	v_add_f16_e32 v25, v25, v3
	v_add_f16_e32 v22, v22, v30
	v_fmac_f16_e32 v35, 0xb8b4, v24
	v_fmac_f16_e32 v2, 0x38b4, v28
	;; [unrolled: 1-line block ×4, first 2 shown]
	s_delay_alu instid0(VALU_DEP_4) | instskip(NEXT) | instid1(VALU_DEP_4)
	v_fmac_f16_e32 v35, 0x34f2, v25
	v_fmac_f16_e32 v2, 0x34f2, v0
	s_delay_alu instid0(VALU_DEP_4) | instskip(SKIP_1) | instid1(VALU_DEP_1)
	v_fmac_f16_e32 v26, 0x34f2, v0
	v_pk_add_f16 v0, v201, v206
	v_pk_add_f16 v0, v0, v208
	s_delay_alu instid0(VALU_DEP_1) | instskip(SKIP_1) | instid1(VALU_DEP_2)
	v_pk_add_f16 v0, v0, v203
	v_sub_f16_e64 v203, v37, v200
	v_pk_add_f16 v199, v0, v1
	v_add_f16_e32 v0, v115, v39
	v_fma_f16 v1, -0.5, v197, v201
	v_sub_f16_e32 v39, v41, v37
	v_sub_f16_e64 v197, v196, v200
	v_pk_add_f16 v25, v32, v199 neg_lo:[0,1] neg_hi:[0,1]
	s_delay_alu instid0(VALU_DEP_3) | instskip(SKIP_1) | instid1(VALU_DEP_4)
	v_fmamk_f16 v115, v39, 0x3b9c, v1
	v_fmac_f16_e32 v1, 0xbb9c, v39
	v_fma_f16 v30, 0xbb9c, v197, v36
	v_fmac_f16_e64 v36, 0x3b9c, v197
	s_delay_alu instid0(VALU_DEP_4) | instskip(NEXT) | instid1(VALU_DEP_4)
	v_fmac_f16_e64 v115, 0xb8b4, v197
	v_fmac_f16_e64 v1, 0x38b4, v197
	s_delay_alu instid0(VALU_DEP_4) | instskip(NEXT) | instid1(VALU_DEP_4)
	v_fmac_f16_e32 v30, 0xb8b4, v39
	v_fmac_f16_e32 v36, 0x38b4, v39
	s_delay_alu instid0(VALU_DEP_4) | instskip(NEXT) | instid1(VALU_DEP_4)
	v_fmac_f16_e32 v115, 0x34f2, v0
	v_fmac_f16_e32 v1, 0x34f2, v0
	v_lshrrev_b32_e32 v0, 16, v201
	v_add_f16_e64 v201, v41, v37
	v_fmac_f16_e32 v30, 0x34f2, v27
	v_fmac_f16_e32 v36, 0x34f2, v27
	s_delay_alu instid0(VALU_DEP_3) | instskip(SKIP_2) | instid1(VALU_DEP_3)
	v_fma_f16 v201, -0.5, v201, v0
	v_fmac_f16_e64 v0, -0.5, v202
	v_sub_f16_e64 v202, v41, v196
	v_fma_f16 v3, 0x3b9c, v198, v201
	v_fmac_f16_e64 v201, 0xbb9c, v198
	s_delay_alu instid0(VALU_DEP_3) | instskip(SKIP_4) | instid1(VALU_DEP_4)
	v_add_f16_e64 v202, v202, v203
	v_fma_f16 v203, 0xbb9c, v40, v0
	v_fmac_f16_e32 v0, 0x3b9c, v40
	v_fmac_f16_e32 v3, 0x38b4, v40
	v_fmac_f16_e64 v201, 0xb8b4, v40
	v_fmac_f16_e64 v203, 0x38b4, v198
	s_delay_alu instid0(VALU_DEP_4) | instskip(NEXT) | instid1(VALU_DEP_4)
	v_fmac_f16_e64 v0, 0xb8b4, v198
	v_fmac_f16_e32 v3, 0x34f2, v22
	s_delay_alu instid0(VALU_DEP_4) | instskip(NEXT) | instid1(VALU_DEP_4)
	v_fmac_f16_e64 v201, 0x34f2, v22
	v_fmac_f16_e64 v203, 0x34f2, v202
	s_delay_alu instid0(VALU_DEP_4) | instskip(NEXT) | instid1(VALU_DEP_4)
	v_fmac_f16_e64 v0, 0x34f2, v202
	v_mul_f16_e32 v37, 0xb8b4, v3
	s_delay_alu instid0(VALU_DEP_4) | instskip(NEXT) | instid1(VALU_DEP_4)
	v_mul_f16_e64 v27, 0xba79, v201
	v_mul_f16_e64 v205, 0xbb9c, v203
	s_delay_alu instid0(VALU_DEP_4)
	v_mul_f16_e64 v202, 0xbb9c, v0
	v_mul_f16_e64 v204, 0xb4f2, v0
	v_fmac_f16_e32 v37, 0x3a79, v30
	v_mul_f16_e32 v30, 0x38b4, v30
	v_fmac_f16_e64 v205, 0x34f2, v115
	v_fmac_f16_e64 v202, 0xb4f2, v1
	;; [unrolled: 1-line block ×3, first 2 shown]
	v_mul_f16_e64 v203, 0x34f2, v203
	v_fmac_f16_e32 v30, 0x3a79, v3
	v_sub_f16_e64 v3, v31, v205
	v_add_f16_e64 v0, v29, v202
	v_add_f16_e64 v1, v26, v204
	v_fmac_f16_e64 v203, 0x3b9c, v115
	v_add_f16_e32 v22, v38, v30
	v_fmac_f16_e32 v27, 0x38b4, v36
	v_sub_f16_e32 v41, v38, v30
	v_pack_b32_f16 v1, v0, v1
	v_add_f16_e64 v0, v31, v205
	v_fmamk_f16 v31, v33, 0xbb9c, v34
	v_fmac_f16_e32 v34, 0x3b9c, v33
	v_add_f16_e64 v115, v2, v203
	v_sub_f16_e64 v2, v2, v203
	s_delay_alu instid0(VALU_DEP_4) | instskip(NEXT) | instid1(VALU_DEP_4)
	v_fmac_f16_e32 v31, 0xb8b4, v23
	v_fmac_f16_e32 v34, 0x38b4, v23
	s_delay_alu instid0(VALU_DEP_4) | instskip(NEXT) | instid1(VALU_DEP_4)
	v_pack_b32_f16 v0, v0, v115
	v_pack_b32_f16 v3, v3, v2
	s_delay_alu instid0(VALU_DEP_4) | instskip(NEXT) | instid1(VALU_DEP_4)
	v_fmac_f16_e32 v31, 0x34f2, v4
	v_fmac_f16_e32 v34, 0x34f2, v4
	v_mul_f16_e64 v4, 0xb8b4, v201
	s_delay_alu instid0(VALU_DEP_3) | instskip(SKIP_1) | instid1(VALU_DEP_3)
	v_add_f16_e32 v28, v31, v37
	v_sub_f16_e32 v2, v31, v37
	v_fmac_f16_e32 v4, 0xba79, v36
	s_delay_alu instid0(VALU_DEP_3) | instskip(SKIP_1) | instid1(VALU_DEP_3)
	v_pack_b32_f16 v23, v28, v22
	v_add_f16_e32 v28, v35, v27
	v_add_f16_e32 v24, v34, v4
	v_pk_add_f16 v22, v32, v199
	v_pack_b32_f16 v2, v2, v41
	s_delay_alu instid0(VALU_DEP_3)
	v_pack_b32_f16 v24, v24, v28
	ds_store_2addr_b64 v116, v[22:23], v[0:1] offset1:1
	ds_store_2addr_b64 v116, v[24:25], v[2:3] offset0:2 offset1:3
	v_sub_f16_e64 v0, v29, v202
	v_sub_f16_e32 v1, v34, v4
	v_sub_f16_e32 v2, v35, v27
	v_sub_f16_e64 v3, v26, v204
	v_lshrrev_b32_e32 v4, 16, v6
	v_lshrrev_b32_e32 v25, 16, v7
	;; [unrolled: 1-line block ×3, first 2 shown]
	v_pack_b32_f16 v1, v1, v2
	v_pack_b32_f16 v0, v0, v3
	v_lshrrev_b32_e32 v2, 16, v5
	ds_store_b64 v116, v[0:1] offset:32
	s_waitcnt lgkmcnt(0)
	s_barrier
	buffer_gl0_inv
	ds_load_2addr_stride64_b32 v[22:23], v58 offset0:8 offset1:10
	ds_load_2addr_stride64_b32 v[37:38], v58 offset0:48 offset1:50
	s_waitcnt lgkmcnt(1)
	v_lshrrev_b32_e32 v0, 16, v23
	v_mul_f16_e32 v1, v2, v23
	s_delay_alu instid0(VALU_DEP_2) | instskip(NEXT) | instid1(VALU_DEP_2)
	v_mul_f16_e32 v29, v2, v0
	v_fma_f16 v31, v5, v0, -v1
	ds_load_2addr_stride64_b32 v[0:1], v58 offset0:20 offset1:22
	v_fmac_f16_e32 v29, v5, v23
	v_lshrrev_b32_e32 v23, 16, v9
	s_waitcnt lgkmcnt(0)
	v_lshrrev_b32_e32 v2, 16, v0
	v_mul_f16_e32 v3, v4, v0
	s_delay_alu instid0(VALU_DEP_2) | instskip(NEXT) | instid1(VALU_DEP_2)
	v_mul_f16_e32 v39, v4, v2
	v_fma_f16 v40, v6, v2, -v3
	ds_load_2addr_stride64_b32 v[2:3], v58 offset0:28 offset1:30
	v_fmac_f16_e32 v39, v6, v0
	v_lshrrev_b32_e32 v0, 16, v10
	s_waitcnt lgkmcnt(0)
	v_lshrrev_b32_e32 v4, 16, v3
	v_mul_f16_e32 v24, v25, v3
	s_delay_alu instid0(VALU_DEP_2)
	v_mul_f16_e32 v41, v25, v4
	ds_load_2addr_stride64_b32 v[25:26], v58 offset0:40 offset1:42
	v_fma_f16 v114, v7, v4, -v24
	v_fmac_f16_e32 v41, v7, v3
	v_lshrrev_b32_e32 v3, 16, v1
	s_waitcnt lgkmcnt(0)
	v_lshrrev_b32_e32 v4, 16, v25
	v_mul_f16_e32 v24, v27, v25
	v_lshrrev_b32_e32 v5, 16, v26
	s_delay_alu instid0(VALU_DEP_3) | instskip(NEXT) | instid1(VALU_DEP_3)
	v_mul_f16_e32 v115, v27, v4
	v_fma_f16 v116, v8, v4, -v24
	v_mul_f16_e32 v4, v0, v1
	s_delay_alu instid0(VALU_DEP_3) | instskip(SKIP_2) | instid1(VALU_DEP_4)
	v_fmac_f16_e32 v115, v8, v25
	v_mul_f16_e32 v25, v0, v3
	v_lshrrev_b32_e32 v0, 16, v12
	v_fma_f16 v35, v10, v3, -v4
	ds_load_2addr_stride64_b32 v[3:4], v58 offset0:32 offset1:34
	v_fmac_f16_e32 v25, v10, v1
	v_mul_f16_e32 v32, v0, v5
	v_mul_f16_e32 v6, v0, v26
	ds_load_2addr_stride64_b32 v[0:1], v58 offset0:12 offset1:14
	v_lshrrev_b32_e32 v10, 16, v11
	v_fmac_f16_e32 v32, v12, v26
	v_fma_f16 v198, v12, v5, -v6
	v_lshrrev_b32_e32 v5, 16, v19
	s_waitcnt lgkmcnt(0)
	v_lshrrev_b32_e32 v7, 16, v0
	v_mul_f16_e32 v8, v23, v0
	s_delay_alu instid0(VALU_DEP_2) | instskip(NEXT) | instid1(VALU_DEP_2)
	v_mul_f16_e32 v26, v23, v7
	v_fma_f16 v28, v9, v7, -v8
	v_lshrrev_b32_e32 v7, 16, v3
	v_mul_f16_e32 v8, v10, v3
	s_delay_alu instid0(VALU_DEP_4) | instskip(SKIP_1) | instid1(VALU_DEP_4)
	v_fmac_f16_e32 v26, v9, v0
	v_lshrrev_b32_e32 v0, 16, v1
	v_mul_f16_e64 v196, v10, v7
	s_delay_alu instid0(VALU_DEP_4) | instskip(SKIP_2) | instid1(VALU_DEP_4)
	v_fma_f16 v197, v11, v7, -v8
	v_lshrrev_b32_e32 v7, 16, v18
	v_lshrrev_b32_e32 v8, 16, v13
	v_fmac_f16_e64 v196, v11, v3
	v_lshrrev_b32_e32 v3, 16, v17
	s_delay_alu instid0(VALU_DEP_1) | instskip(NEXT) | instid1(VALU_DEP_1)
	v_mul_f16_e32 v12, v3, v0
	v_fmac_f16_e32 v12, v17, v1
	v_mul_f16_e32 v1, v3, v1
	v_lshrrev_b32_e32 v3, 16, v4
	s_delay_alu instid0(VALU_DEP_2) | instskip(NEXT) | instid1(VALU_DEP_2)
	v_fma_f16 v23, v17, v0, -v1
	v_mul_f16_e32 v24, v5, v3
	ds_load_2addr_stride64_b32 v[0:1], v58 offset0:24 offset1:26
	v_fmac_f16_e32 v24, v19, v4
	v_mul_f16_e32 v4, v5, v4
	s_delay_alu instid0(VALU_DEP_1) | instskip(SKIP_4) | instid1(VALU_DEP_2)
	v_fma_f16 v27, v19, v3, -v4
	ds_load_2addr_stride64_b32 v[3:4], v58 offset0:44 offset1:46
	s_waitcnt lgkmcnt(1)
	v_lshrrev_b32_e32 v5, 16, v0
	v_mul_f16_e32 v6, v7, v0
	v_mul_f16_e32 v30, v7, v5
	s_delay_alu instid0(VALU_DEP_2) | instskip(SKIP_1) | instid1(VALU_DEP_3)
	v_fma_f16 v33, v18, v5, -v6
	v_lshrrev_b32_e32 v7, 16, v20
	v_fmac_f16_e32 v30, v18, v0
	s_waitcnt lgkmcnt(0)
	v_lshrrev_b32_e32 v5, 16, v3
	s_delay_alu instid0(VALU_DEP_3) | instskip(SKIP_2) | instid1(VALU_DEP_4)
	v_mul_f16_e32 v6, v7, v3
	v_lshrrev_b32_e32 v0, 16, v14
	v_lshrrev_b32_e32 v18, 16, v15
	v_mul_f16_e32 v34, v7, v5
	s_delay_alu instid0(VALU_DEP_4) | instskip(NEXT) | instid1(VALU_DEP_4)
	v_fma_f16 v36, v20, v5, -v6
	v_mul_f16_e32 v5, v0, v1
	v_lshrrev_b32_e32 v6, 16, v4
	s_delay_alu instid0(VALU_DEP_4) | instskip(SKIP_1) | instid1(VALU_DEP_1)
	v_fmac_f16_e32 v34, v20, v3
	v_lshrrev_b32_e32 v3, 16, v1
	v_mul_f16_e32 v7, v0, v3
	v_lshrrev_b32_e32 v0, 16, v16
	s_delay_alu instid0(VALU_DEP_2) | instskip(NEXT) | instid1(VALU_DEP_2)
	v_fmac_f16_e32 v7, v14, v1
	v_mul_f16_e32 v17, v0, v6
	v_mul_f16_e32 v9, v0, v4
	ds_load_2addr_stride64_b32 v[0:1], v58 offset0:16 offset1:18
	v_fma_f16 v14, v14, v3, -v5
	v_fmac_f16_e32 v17, v16, v4
	v_fma_f16 v16, v16, v6, -v9
	v_lshrrev_b32_e32 v9, 16, v2
	v_lshrrev_b32_e32 v6, 16, v169
	s_waitcnt lgkmcnt(0)
	v_lshrrev_b32_e32 v4, 16, v0
	v_mul_f16_e32 v10, v8, v0
	s_delay_alu instid0(VALU_DEP_2) | instskip(NEXT) | instid1(VALU_DEP_2)
	v_mul_f16_e32 v8, v8, v4
	v_fma_f16 v11, v13, v4, -v10
	ds_load_2addr_stride64_b32 v[3:4], v58 offset0:36 offset1:38
	v_fmac_f16_e32 v8, v13, v0
	v_lshrrev_b32_e32 v13, 16, v170
	s_waitcnt lgkmcnt(0)
	v_lshrrev_b32_e32 v5, 16, v3
	v_mul_f16_e32 v10, v18, v3
	s_delay_alu instid0(VALU_DEP_2) | instskip(NEXT) | instid1(VALU_DEP_2)
	v_mul_f16_e32 v19, v18, v5
	v_fma_f16 v18, v15, v5, -v10
	v_lshrrev_b32_e32 v5, 16, v168
	v_lshrrev_b32_e32 v10, 16, v4
	s_delay_alu instid0(VALU_DEP_4) | instskip(SKIP_2) | instid1(VALU_DEP_2)
	v_fmac_f16_e32 v19, v15, v3
	v_lshrrev_b32_e32 v3, 16, v1
	v_lshrrev_b32_e32 v15, 16, v130
	v_mul_f16_e32 v0, v5, v3
	s_delay_alu instid0(VALU_DEP_1) | instskip(SKIP_2) | instid1(VALU_DEP_2)
	v_fmac_f16_e64 v0, v168, v1
	v_mul_f16_e32 v1, v5, v1
	v_mul_f16_e32 v5, v6, v9
	v_fma_f16 v1, v168, v3, -v1
	s_delay_alu instid0(VALU_DEP_2) | instskip(SKIP_4) | instid1(VALU_DEP_4)
	v_fmac_f16_e64 v5, v169, v2
	v_mul_f16_e32 v2, v6, v2
	v_mul_f16_e32 v6, v13, v10
	v_lshrrev_b32_e32 v3, 16, v171
	v_mul_f16_e32 v13, v13, v4
	v_fma_f16 v2, v169, v9, -v2
	s_delay_alu instid0(VALU_DEP_4) | instskip(SKIP_4) | instid1(VALU_DEP_4)
	v_fmac_f16_e64 v6, v170, v4
	v_lshrrev_b32_e32 v4, 16, v37
	v_mul_f16_e32 v9, v3, v37
	v_fma_f16 v10, v170, v10, -v13
	v_sub_f16_e64 v170, v40, v116
	v_mul_f16_e32 v3, v3, v4
	s_delay_alu instid0(VALU_DEP_4) | instskip(SKIP_1) | instid1(VALU_DEP_3)
	v_fma_f16 v9, v171, v4, -v9
	v_lshrrev_b32_e32 v4, 16, v38
	v_fmac_f16_e64 v3, v171, v37
	s_delay_alu instid0(VALU_DEP_2) | instskip(SKIP_1) | instid1(VALU_DEP_2)
	v_mul_f16_e32 v13, v15, v4
	v_mul_f16_e32 v15, v15, v38
	v_fmac_f16_e64 v13, v130, v38
	ds_load_2addr_stride64_b32 v[37:38], v58 offset1:2
	v_fma_f16 v4, v130, v4, -v15
	v_add_f16_e64 v130, v40, v116
	v_add_f16_e64 v168, v41, v13
	s_delay_alu instid0(VALU_DEP_3) | instskip(SKIP_2) | instid1(VALU_DEP_1)
	v_sub_f16_e64 v171, v114, v4
	s_waitcnt lgkmcnt(0)
	v_lshrrev_b32_e32 v15, 16, v37
	v_add_f16_e32 v20, v15, v40
	v_add_f16_e32 v40, v37, v39
	v_fmac_f16_e64 v15, -0.5, v130
	v_sub_f16_e64 v130, v39, v115
	s_delay_alu instid0(VALU_DEP_4) | instskip(NEXT) | instid1(VALU_DEP_4)
	v_add_f16_e32 v20, v20, v116
	v_add_f16_e32 v116, v40, v115
	;; [unrolled: 1-line block ×5, first 2 shown]
	v_fma_f16 v203, 0x3aee, v130, v15
	v_fmac_f16_e64 v15, 0xbaee, v130
	v_fma_f16 v37, -0.5, v40, v37
	v_fmac_f16_e32 v31, -0.5, v39
	v_add_f16_e32 v39, v29, v41
	v_sub_f16_e32 v41, v41, v13
	v_fmac_f16_e64 v29, -0.5, v168
	v_add_f16_e32 v4, v115, v4
	v_fma_f16 v202, 0xbaee, v170, v37
	v_add_f16_e32 v13, v39, v13
	v_fmamk_f16 v39, v41, 0x3aee, v31
	v_fmac_f16_e32 v31, 0xbaee, v41
	v_add_f16_e32 v114, v20, v4
	v_fmac_f16_e64 v37, 0x3aee, v170
	v_sub_f16_e32 v4, v20, v4
	v_mul_f16_e64 v199, 0xbaee, v39
	v_mul_f16_e64 v200, 0.5, v39
	v_fma_f16 v39, 0xbaee, v171, v29
	v_fmac_f16_e64 v29, 0x3aee, v171
	v_mul_f16_e32 v41, 0xbaee, v31
	v_mul_f16_e32 v31, -0.5, v31
	s_delay_alu instid0(VALU_DEP_4)
	v_fmac_f16_e64 v199, 0.5, v39
	v_fmac_f16_e64 v200, 0x3aee, v39
	v_add_f16_e32 v39, v116, v13
	v_fmac_f16_e32 v41, -0.5, v29
	v_fmac_f16_e32 v31, 0x3aee, v29
	v_sub_f16_e32 v13, v116, v13
	v_add_f16_e64 v40, v203, v200
	v_pack_b32_f16 v201, v39, v114
	v_add_f16_e64 v39, v202, v199
	v_add_f16_e32 v20, v37, v41
	v_add_f16_e32 v29, v15, v31
	v_pack_b32_f16 v4, v13, v4
	v_sub_f16_e32 v13, v37, v41
	v_pack_b32_f16 v204, v39, v40
	ds_load_2addr_stride64_b32 v[39:40], v58 offset0:52 offset1:54
	ds_load_2addr_stride64_b32 v[114:115], v58 offset0:4 offset1:6
	;; [unrolled: 1-line block ×3, first 2 shown]
	v_pack_b32_f16 v20, v20, v29
	s_waitcnt lgkmcnt(0)
	s_barrier
	buffer_gl0_inv
	v_sub_f16_e32 v15, v15, v31
	ds_store_2addr_b32 v123, v20, v4 offset0:20 offset1:30
	v_sub_f16_e64 v4, v202, v199
	v_sub_f16_e64 v20, v203, v200
	v_add_f16_e32 v29, v38, v25
	v_pack_b32_f16 v13, v13, v15
	v_lshrrev_b32_e32 v15, 16, v118
	v_add_f16_e64 v37, v26, v196
	v_pack_b32_f16 v4, v4, v20
	v_lshrrev_b32_e32 v20, 16, v38
	v_add_f16_e32 v29, v29, v32
	ds_store_2addr_b32 v123, v201, v204 offset1:10
	ds_store_2addr_b32 v123, v4, v13 offset0:40 offset1:50
	v_lshrrev_b32_e32 v4, 16, v39
	v_mul_f16_e32 v13, v15, v39
	s_delay_alu instid0(VALU_DEP_2) | instskip(NEXT) | instid1(VALU_DEP_2)
	v_mul_f16_e32 v15, v15, v4
	v_fma_f16 v4, v118, v4, -v13
	v_add_f16_e32 v13, v25, v32
	v_sub_f16_e32 v25, v25, v32
	s_delay_alu instid0(VALU_DEP_4) | instskip(SKIP_1) | instid1(VALU_DEP_4)
	v_fmac_f16_e32 v15, v118, v39
	v_add_f16_e64 v39, v28, v197
	v_fmac_f16_e32 v38, -0.5, v13
	v_sub_f16_e64 v13, v35, v198
	s_delay_alu instid0(VALU_DEP_1) | instskip(SKIP_2) | instid1(VALU_DEP_1)
	v_fmamk_f16 v31, v13, 0xbaee, v38
	v_fmac_f16_e32 v38, 0x3aee, v13
	v_add_f16_e64 v13, v196, v15
	v_fmac_f16_e32 v26, -0.5, v13
	v_add_f16_e64 v13, v197, v4
	s_delay_alu instid0(VALU_DEP_1) | instskip(SKIP_2) | instid1(VALU_DEP_2)
	v_fmac_f16_e32 v28, -0.5, v13
	v_sub_f16_e64 v13, v196, v15
	v_add_f16_e32 v15, v37, v15
	v_fmamk_f16 v41, v13, 0x3aee, v28
	v_fmac_f16_e32 v28, 0xbaee, v13
	v_sub_f16_e64 v13, v197, v4
	v_add_f16_e32 v4, v39, v4
	v_add_f16_e32 v37, v29, v15
	v_mul_f16_e32 v32, 0xbaee, v41
	v_sub_f16_e32 v15, v29, v15
	v_fmamk_f16 v116, v13, 0xbaee, v26
	v_fmac_f16_e32 v26, 0x3aee, v13
	v_mul_f16_e32 v13, 0xbaee, v28
	v_sub_f16_e32 v29, v30, v34
	s_delay_alu instid0(VALU_DEP_4) | instskip(NEXT) | instid1(VALU_DEP_3)
	v_fmac_f16_e32 v32, 0.5, v116
	v_fmac_f16_e32 v13, -0.5, v26
	s_delay_alu instid0(VALU_DEP_1) | instskip(SKIP_3) | instid1(VALU_DEP_2)
	v_add_f16_e32 v118, v38, v13
	v_sub_f16_e32 v13, v38, v13
	v_add_f16_e32 v38, v20, v35
	v_add_f16_e64 v35, v35, v198
	v_add_f16_e64 v38, v38, v198
	s_delay_alu instid0(VALU_DEP_2) | instskip(SKIP_2) | instid1(VALU_DEP_4)
	v_fmac_f16_e32 v20, -0.5, v35
	v_mul_f16_e32 v35, 0.5, v41
	v_add_f16_e32 v41, v31, v32
	v_add_f16_e32 v39, v38, v4
	v_sub_f16_e32 v4, v38, v4
	s_delay_alu instid0(VALU_DEP_4) | instskip(NEXT) | instid1(VALU_DEP_3)
	v_fmac_f16_e32 v35, 0x3aee, v116
	v_pack_b32_f16 v37, v37, v39
	v_fmamk_f16 v39, v25, 0x3aee, v20
	v_fmac_f16_e32 v20, 0xbaee, v25
	v_mul_f16_e32 v25, -0.5, v28
	v_pack_b32_f16 v4, v15, v4
	v_add_f16_e32 v28, v30, v34
	v_sub_f16_e32 v15, v39, v35
	v_add_f16_e32 v116, v39, v35
	v_fmac_f16_e32 v25, 0x3aee, v26
	s_delay_alu instid0(VALU_DEP_4) | instskip(NEXT) | instid1(VALU_DEP_3)
	v_fma_f16 v28, -0.5, v28, v114
	v_pack_b32_f16 v41, v41, v116
	s_delay_alu instid0(VALU_DEP_3)
	v_add_f16_e32 v26, v20, v25
	v_sub_f16_e32 v20, v20, v25
	v_add_f16_e32 v25, v33, v36
	ds_store_2addr_b32 v124, v37, v41 offset1:10
	v_pack_b32_f16 v26, v118, v26
	v_pack_b32_f16 v13, v13, v20
	ds_store_2addr_b32 v124, v26, v4 offset0:20 offset1:30
	v_sub_f16_e32 v4, v31, v32
	v_add_f16_e32 v31, v23, v27
	v_sub_f16_e32 v26, v33, v36
	s_delay_alu instid0(VALU_DEP_3) | instskip(SKIP_3) | instid1(VALU_DEP_1)
	v_pack_b32_f16 v4, v4, v15
	v_lshrrev_b32_e32 v15, 16, v122
	ds_store_2addr_b32 v124, v4, v13 offset0:40 offset1:50
	v_lshrrev_b32_e32 v4, 16, v40
	v_mul_f16_e32 v13, v15, v4
	v_mul_f16_e32 v15, v15, v40
	s_delay_alu instid0(VALU_DEP_2) | instskip(NEXT) | instid1(VALU_DEP_2)
	v_fmac_f16_e32 v13, v122, v40
	v_fma_f16 v4, v122, v4, -v15
	v_lshrrev_b32_e32 v15, 16, v114
	s_delay_alu instid0(VALU_DEP_3) | instskip(NEXT) | instid1(VALU_DEP_2)
	v_add_f16_e32 v32, v24, v13
	v_add_f16_e32 v20, v15, v33
	v_fmac_f16_e32 v15, -0.5, v25
	v_add_f16_e32 v25, v114, v30
	v_add_f16_e32 v30, v27, v4
	v_sub_f16_e32 v27, v27, v4
	v_add_f16_e32 v20, v20, v36
	v_add_f16_e32 v4, v31, v4
	;; [unrolled: 1-line block ×3, first 2 shown]
	v_fmac_f16_e32 v23, -0.5, v30
	v_add_f16_e32 v30, v12, v24
	v_sub_f16_e32 v24, v24, v13
	v_fmac_f16_e32 v12, -0.5, v32
	v_add_f16_e32 v33, v20, v4
	v_fmamk_f16 v34, v29, 0x3aee, v15
	v_add_f16_e32 v13, v30, v13
	v_fmamk_f16 v30, v24, 0x3aee, v23
	v_fmamk_f16 v32, v27, 0xbaee, v12
	v_fmac_f16_e32 v23, 0xbaee, v24
	v_fmac_f16_e32 v12, 0x3aee, v27
	;; [unrolled: 1-line block ×3, first 2 shown]
	v_mul_f16_e32 v31, 0xbaee, v30
	v_mul_f16_e32 v30, 0.5, v30
	v_mul_f16_e32 v24, 0xbaee, v23
	v_mul_f16_e32 v23, -0.5, v23
	v_sub_f16_e32 v4, v20, v4
	v_fmac_f16_e32 v31, 0.5, v32
	v_fmac_f16_e32 v30, 0x3aee, v32
	v_add_f16_e32 v32, v25, v13
	v_fmac_f16_e32 v24, -0.5, v12
	v_fmac_f16_e32 v23, 0x3aee, v12
	v_sub_f16_e32 v12, v25, v13
	v_add_f16_e32 v25, v11, v18
	v_pack_b32_f16 v32, v32, v33
	v_fmamk_f16 v33, v26, 0xbaee, v28
	v_fmac_f16_e32 v28, 0x3aee, v26
	v_add_f16_e32 v20, v15, v23
	v_pack_b32_f16 v4, v12, v4
	v_sub_f16_e32 v15, v15, v23
	v_add_f16_e32 v35, v33, v31
	v_add_f16_e32 v13, v28, v24
	v_sub_f16_e32 v12, v28, v24
	v_add_f16_e32 v24, v8, v19
	v_add_f16_e32 v36, v34, v30
	s_delay_alu instid0(VALU_DEP_4) | instskip(NEXT) | instid1(VALU_DEP_4)
	v_pack_b32_f16 v13, v13, v20
	v_pack_b32_f16 v12, v12, v15
	v_lshrrev_b32_e32 v15, 16, v115
	v_add_f16_e32 v20, v115, v7
	v_pack_b32_f16 v35, v35, v36
	ds_store_2addr_b32 v127, v13, v4 offset0:20 offset1:30
	v_sub_f16_e32 v4, v33, v31
	v_sub_f16_e32 v13, v34, v30
	v_add_f16_e32 v27, v15, v14
	ds_store_2addr_b32 v127, v32, v35 offset1:10
	v_add_nc_u32_e32 v34, 0x400, v58
	v_pack_b32_f16 v4, v4, v13
	v_lshrrev_b32_e32 v13, 16, v120
	ds_store_2addr_b32 v127, v4, v12 offset0:40 offset1:50
	v_lshrrev_b32_e32 v4, 16, v168
	v_mul_f16_e64 v12, v13, v168
	s_delay_alu instid0(VALU_DEP_2) | instskip(NEXT) | instid1(VALU_DEP_2)
	v_mul_f16_e32 v13, v13, v4
	v_fma_f16 v4, v120, v4, -v12
	v_add_f16_e32 v12, v7, v17
	v_sub_f16_e32 v7, v7, v17
	s_delay_alu instid0(VALU_DEP_4) | instskip(NEXT) | instid1(VALU_DEP_3)
	v_fmac_f16_e64 v13, v120, v168
	v_fmac_f16_e32 v115, -0.5, v12
	v_sub_f16_e32 v12, v14, v16
	v_add_f16_e32 v14, v14, v16
	v_add_f16_e32 v16, v27, v16
	s_delay_alu instid0(VALU_DEP_3) | instskip(SKIP_4) | instid1(VALU_DEP_3)
	v_fmamk_f16 v23, v12, 0xbaee, v115
	v_fmac_f16_e32 v115, 0x3aee, v12
	v_add_f16_e32 v12, v19, v13
	v_fmac_f16_e32 v15, -0.5, v14
	v_add_f16_e32 v14, v20, v17
	v_fmac_f16_e32 v8, -0.5, v12
	v_add_f16_e32 v12, v18, v4
	s_delay_alu instid0(VALU_DEP_1) | instskip(SKIP_2) | instid1(VALU_DEP_2)
	v_fmac_f16_e32 v11, -0.5, v12
	v_sub_f16_e32 v12, v19, v13
	v_add_f16_e32 v13, v24, v13
	v_fmamk_f16 v19, v12, 0x3aee, v11
	v_fmac_f16_e32 v11, 0xbaee, v12
	v_sub_f16_e32 v12, v18, v4
	v_add_f16_e32 v4, v25, v4
	s_delay_alu instid0(VALU_DEP_4) | instskip(SKIP_1) | instid1(VALU_DEP_4)
	v_mul_f16_e32 v17, 0xbaee, v19
	v_mul_f16_e32 v19, 0.5, v19
	v_fmamk_f16 v18, v12, 0xbaee, v8
	s_delay_alu instid0(VALU_DEP_4)
	v_add_f16_e32 v20, v16, v4
	v_fmac_f16_e32 v8, 0x3aee, v12
	v_mul_f16_e32 v12, 0xbaee, v11
	v_sub_f16_e32 v4, v16, v4
	v_fmac_f16_e32 v17, 0.5, v18
	v_fmac_f16_e32 v19, 0x3aee, v18
	v_add_f16_e32 v18, v14, v13
	v_fmac_f16_e32 v12, -0.5, v8
	s_delay_alu instid0(VALU_DEP_4) | instskip(NEXT) | instid1(VALU_DEP_3)
	v_add_f16_e32 v24, v23, v17
	v_pack_b32_f16 v18, v18, v20
	v_fmamk_f16 v20, v7, 0x3aee, v15
	v_fmac_f16_e32 v15, 0xbaee, v7
	v_mul_f16_e32 v7, -0.5, v11
	v_add_f16_e32 v26, v115, v12
	v_sub_f16_e32 v12, v115, v12
	v_add_f16_e32 v25, v20, v19
	s_delay_alu instid0(VALU_DEP_4) | instskip(SKIP_2) | instid1(VALU_DEP_4)
	v_fmac_f16_e32 v7, 0x3aee, v8
	v_sub_f16_e32 v8, v14, v13
	v_add_f16_e32 v14, v0, v6
	v_pack_b32_f16 v24, v24, v25
	s_delay_alu instid0(VALU_DEP_4) | instskip(NEXT) | instid1(VALU_DEP_4)
	v_add_f16_e32 v11, v15, v7
	v_pack_b32_f16 v4, v8, v4
	v_sub_f16_e32 v8, v20, v19
	v_sub_f16_e32 v7, v15, v7
	v_add_f16_e32 v15, v1, v10
	v_pack_b32_f16 v11, v26, v11
	ds_store_2addr_b32 v132, v18, v24 offset1:10
	v_pack_b32_f16 v7, v12, v7
	v_add_f16_e32 v12, v22, v5
	ds_store_2addr_b32 v132, v11, v4 offset0:20 offset1:30
	v_sub_f16_e32 v4, v23, v17
	v_lshrrev_b32_e32 v11, 16, v22
	s_delay_alu instid0(VALU_DEP_2) | instskip(SKIP_1) | instid1(VALU_DEP_3)
	v_pack_b32_f16 v4, v4, v8
	v_lshrrev_b32_e32 v8, 16, v103
	v_add_f16_e32 v17, v11, v2
	ds_store_2addr_b32 v132, v4, v7 offset0:40 offset1:50
	v_lshrrev_b32_e32 v4, 16, v169
	s_delay_alu instid0(VALU_DEP_1) | instskip(SKIP_1) | instid1(VALU_DEP_2)
	v_mul_f16_e32 v7, v8, v4
	v_mul_f16_e64 v8, v8, v169
	v_fmac_f16_e64 v7, v103, v169
	s_delay_alu instid0(VALU_DEP_2) | instskip(SKIP_1) | instid1(VALU_DEP_1)
	v_fma_f16 v4, v103, v4, -v8
	v_add_f16_e32 v8, v5, v3
	v_fmac_f16_e32 v22, -0.5, v8
	v_sub_f16_e32 v8, v2, v9
	v_add_f16_e32 v2, v2, v9
	v_add_f16_e32 v9, v17, v9
	s_delay_alu instid0(VALU_DEP_3)
	v_fmamk_f16 v13, v8, 0xbaee, v22
	v_fmac_f16_e32 v22, 0x3aee, v8
	v_add_f16_e32 v8, v6, v7
	v_sub_f16_e32 v6, v6, v7
	v_fmac_f16_e32 v11, -0.5, v2
	v_add_f16_e32 v2, v12, v3
	v_sub_f16_e32 v3, v5, v3
	v_fmac_f16_e32 v0, -0.5, v8
	v_add_f16_e32 v8, v10, v4
	v_add_f16_e32 v5, v14, v7
	s_delay_alu instid0(VALU_DEP_2) | instskip(NEXT) | instid1(VALU_DEP_1)
	v_fmac_f16_e32 v1, -0.5, v8
	v_fmamk_f16 v8, v6, 0x3aee, v1
	v_fmac_f16_e32 v1, 0xbaee, v6
	v_sub_f16_e32 v6, v10, v4
	v_add_f16_e32 v4, v15, v4
	s_delay_alu instid0(VALU_DEP_4) | instskip(SKIP_1) | instid1(VALU_DEP_4)
	v_mul_f16_e32 v7, 0xbaee, v8
	v_mul_f16_e32 v8, 0.5, v8
	v_fmamk_f16 v10, v6, 0xbaee, v0
	v_fmac_f16_e32 v0, 0x3aee, v6
	v_mul_f16_e32 v6, 0xbaee, v1
	v_add_f16_e32 v12, v9, v4
	v_mul_f16_e32 v1, -0.5, v1
	v_fmac_f16_e32 v7, 0.5, v10
	v_fmac_f16_e32 v8, 0x3aee, v10
	v_add_f16_e32 v10, v2, v5
	v_fmac_f16_e32 v6, -0.5, v0
	v_fmac_f16_e32 v1, 0x3aee, v0
	v_sub_f16_e32 v0, v2, v5
	v_sub_f16_e32 v2, v9, v4
	v_pack_b32_f16 v10, v10, v12
	v_fmamk_f16 v12, v3, 0x3aee, v11
	v_fmac_f16_e32 v11, 0xbaee, v3
	v_add_f16_e32 v16, v22, v6
	v_pack_b32_f16 v0, v0, v2
	v_sub_f16_e32 v6, v22, v6
	v_add_f16_e32 v14, v13, v7
	v_add_f16_e32 v3, v11, v1
	;; [unrolled: 1-line block ×3, first 2 shown]
	v_sub_f16_e32 v2, v12, v8
	v_sub_f16_e32 v1, v11, v1
	v_lshrrev_b32_e32 v4, 16, v164
	v_pack_b32_f16 v3, v16, v3
	v_pack_b32_f16 v14, v14, v15
	s_delay_alu instid0(VALU_DEP_4)
	v_pack_b32_f16 v1, v6, v1
	ds_store_2addr_b32 v131, v3, v0 offset0:20 offset1:30
	v_sub_f16_e32 v0, v13, v7
	ds_store_2addr_b32 v131, v10, v14 offset1:10
	v_pack_b32_f16 v0, v0, v2
	ds_store_2addr_b32 v131, v0, v1 offset0:40 offset1:50
	s_waitcnt lgkmcnt(0)
	s_barrier
	buffer_gl0_inv
	ds_load_2addr_stride64_b32 v[0:1], v58 offset0:28 offset1:30
	s_waitcnt lgkmcnt(0)
	v_lshrrev_b32_e32 v2, 16, v1
	v_mul_f16_e32 v3, v4, v1
	s_delay_alu instid0(VALU_DEP_2) | instskip(NEXT) | instid1(VALU_DEP_2)
	v_mul_f16_e32 v4, v4, v2
	v_fma_f16 v3, v164, v2, -v3
	s_delay_alu instid0(VALU_DEP_2) | instskip(SKIP_4) | instid1(VALU_DEP_2)
	v_fmac_f16_e64 v4, v164, v1
	ds_load_2addr_stride64_b32 v[1:2], v58 offset1:2
	s_waitcnt lgkmcnt(0)
	v_lshrrev_b32_e32 v5, 16, v1
	v_sub_f16_e32 v4, v1, v4
	v_sub_f16_e32 v3, v5, v3
	s_delay_alu instid0(VALU_DEP_2) | instskip(NEXT) | instid1(VALU_DEP_2)
	v_fma_f16 v1, v1, 2.0, -v4
	v_fma_f16 v5, v5, 2.0, -v3
	v_pack_b32_f16 v30, v4, v3
	s_delay_alu instid0(VALU_DEP_2)
	v_pack_b32_f16 v1, v1, v5
	ds_load_2addr_stride64_b32 v[3:4], v58 offset0:32 offset1:34
	ds_load_2addr_stride64_b32 v[5:6], v58 offset0:4 offset1:6
	;; [unrolled: 1-line block ×13, first 2 shown]
	s_waitcnt lgkmcnt(0)
	s_barrier
	buffer_gl0_inv
	scratch_load_b32 v31, off, off offset:184 ; 4-byte Folded Reload
	s_waitcnt vmcnt(0)
	ds_store_2addr_b32 v31, v1, v30 offset1:60
	v_lshrrev_b32_e32 v1, 16, v3
	v_lshrrev_b32_e32 v31, 16, v147
	s_delay_alu instid0(VALU_DEP_1) | instskip(NEXT) | instid1(VALU_DEP_3)
	v_mul_f16_e32 v30, v31, v3
	v_mul_f16_e32 v31, v31, v1
	s_delay_alu instid0(VALU_DEP_2) | instskip(NEXT) | instid1(VALU_DEP_2)
	v_fma_f16 v1, v147, v1, -v30
	v_fmac_f16_e64 v31, v147, v3
	v_lshrrev_b32_e32 v30, 16, v2
	s_delay_alu instid0(VALU_DEP_2) | instskip(NEXT) | instid1(VALU_DEP_2)
	v_sub_f16_e32 v3, v2, v31
	v_sub_f16_e32 v1, v30, v1
	s_delay_alu instid0(VALU_DEP_2) | instskip(NEXT) | instid1(VALU_DEP_2)
	v_fma_f16 v2, v2, 2.0, -v3
	v_fma_f16 v30, v30, 2.0, -v1
	v_pack_b32_f16 v1, v3, v1
	scratch_load_b32 v3, off, off offset:188 ; 4-byte Folded Reload
	v_pack_b32_f16 v2, v2, v30
	s_waitcnt vmcnt(0)
	ds_store_2addr_b32 v3, v2, v1 offset1:60
	v_lshrrev_b32_e32 v1, 16, v4
	v_lshrrev_b32_e32 v3, 16, v148
	s_delay_alu instid0(VALU_DEP_1) | instskip(SKIP_1) | instid1(VALU_DEP_2)
	v_mul_f16_e32 v2, v3, v1
	v_mul_f16_e32 v3, v3, v4
	v_fmac_f16_e64 v2, v148, v4
	s_delay_alu instid0(VALU_DEP_2) | instskip(SKIP_1) | instid1(VALU_DEP_3)
	v_fma_f16 v1, v148, v1, -v3
	v_lshrrev_b32_e32 v3, 16, v5
	v_sub_f16_e32 v2, v5, v2
	s_delay_alu instid0(VALU_DEP_2) | instskip(NEXT) | instid1(VALU_DEP_2)
	v_sub_f16_e32 v1, v3, v1
	v_fma_f16 v4, v5, 2.0, -v2
	s_delay_alu instid0(VALU_DEP_2)
	v_fma_f16 v3, v3, 2.0, -v1
	v_pack_b32_f16 v1, v2, v1
	scratch_load_b32 v2, off, off offset:192 ; 4-byte Folded Reload
	v_pack_b32_f16 v3, v4, v3
	s_waitcnt vmcnt(0)
	ds_store_2addr_b32 v2, v3, v1 offset1:60
	v_lshrrev_b32_e32 v1, 16, v7
	v_lshrrev_b32_e32 v3, 16, v145
	s_delay_alu instid0(VALU_DEP_1) | instskip(NEXT) | instid1(VALU_DEP_3)
	v_mul_f16_e32 v2, v3, v7
	v_mul_f16_e32 v3, v3, v1
	s_delay_alu instid0(VALU_DEP_2) | instskip(NEXT) | instid1(VALU_DEP_2)
	v_fma_f16 v1, v145, v1, -v2
	v_fmac_f16_e64 v3, v145, v7
	s_delay_alu instid0(VALU_DEP_1) | instskip(SKIP_1) | instid1(VALU_DEP_2)
	v_sub_f16_e32 v2, v6, v3
	v_lshrrev_b32_e32 v3, 16, v6
	v_fma_f16 v4, v6, 2.0, -v2
	s_delay_alu instid0(VALU_DEP_2) | instskip(NEXT) | instid1(VALU_DEP_1)
	v_sub_f16_e32 v1, v3, v1
	v_fma_f16 v3, v3, 2.0, -v1
	v_pack_b32_f16 v1, v2, v1
	scratch_load_b32 v2, off, off offset:196 ; 4-byte Folded Reload
	v_pack_b32_f16 v3, v4, v3
	s_waitcnt vmcnt(0)
	ds_store_2addr_b32 v2, v3, v1 offset1:60
	v_lshrrev_b32_e32 v1, 16, v8
	v_lshrrev_b32_e32 v3, 16, v144
	s_delay_alu instid0(VALU_DEP_1) | instskip(SKIP_1) | instid1(VALU_DEP_2)
	v_mul_f16_e32 v2, v3, v1
	v_mul_f16_e32 v3, v3, v8
	v_fmac_f16_e64 v2, v144, v8
	s_delay_alu instid0(VALU_DEP_2) | instskip(SKIP_1) | instid1(VALU_DEP_3)
	v_fma_f16 v1, v144, v1, -v3
	v_lshrrev_b32_e32 v3, 16, v9
	v_sub_f16_e32 v2, v9, v2
	s_delay_alu instid0(VALU_DEP_2) | instskip(NEXT) | instid1(VALU_DEP_2)
	v_sub_f16_e32 v1, v3, v1
	v_fma_f16 v4, v9, 2.0, -v2
	s_delay_alu instid0(VALU_DEP_2)
	v_fma_f16 v3, v3, 2.0, -v1
	v_pack_b32_f16 v1, v2, v1
	scratch_load_b32 v2, off, off offset:200 ; 4-byte Folded Reload
	v_pack_b32_f16 v3, v4, v3
	s_waitcnt vmcnt(0)
	ds_store_2addr_b32 v2, v3, v1 offset1:60
	v_lshrrev_b32_e32 v1, 16, v11
	v_lshrrev_b32_e32 v3, 16, v142
	s_delay_alu instid0(VALU_DEP_1) | instskip(NEXT) | instid1(VALU_DEP_3)
	v_mul_f16_e32 v2, v3, v11
	v_mul_f16_e32 v3, v3, v1
	s_delay_alu instid0(VALU_DEP_2) | instskip(NEXT) | instid1(VALU_DEP_2)
	v_fma_f16 v1, v142, v1, -v2
	v_fmac_f16_e64 v3, v142, v11
	s_delay_alu instid0(VALU_DEP_1) | instskip(SKIP_1) | instid1(VALU_DEP_2)
	v_sub_f16_e32 v2, v10, v3
	v_lshrrev_b32_e32 v3, 16, v10
	v_fma_f16 v4, v10, 2.0, -v2
	s_delay_alu instid0(VALU_DEP_2) | instskip(NEXT) | instid1(VALU_DEP_1)
	v_sub_f16_e32 v1, v3, v1
	v_fma_f16 v3, v3, 2.0, -v1
	v_pack_b32_f16 v1, v2, v1
	scratch_load_b32 v2, off, off offset:204 ; 4-byte Folded Reload
	v_pack_b32_f16 v3, v4, v3
	s_waitcnt vmcnt(0)
	ds_store_2addr_b32 v2, v3, v1 offset1:60
	v_lshrrev_b32_e32 v1, 16, v12
	v_lshrrev_b32_e32 v3, 16, v140
	s_delay_alu instid0(VALU_DEP_1) | instskip(SKIP_1) | instid1(VALU_DEP_2)
	v_mul_f16_e32 v2, v3, v1
	v_mul_f16_e32 v3, v3, v12
	v_fmac_f16_e64 v2, v140, v12
	s_delay_alu instid0(VALU_DEP_2) | instskip(SKIP_1) | instid1(VALU_DEP_3)
	v_fma_f16 v1, v140, v1, -v3
	v_lshrrev_b32_e32 v3, 16, v13
	v_sub_f16_e32 v2, v13, v2
	s_delay_alu instid0(VALU_DEP_2) | instskip(NEXT) | instid1(VALU_DEP_2)
	v_sub_f16_e32 v1, v3, v1
	v_fma_f16 v4, v13, 2.0, -v2
	s_delay_alu instid0(VALU_DEP_2)
	v_fma_f16 v3, v3, 2.0, -v1
	v_pack_b32_f16 v1, v2, v1
	scratch_load_b32 v2, off, off offset:208 ; 4-byte Folded Reload
	v_pack_b32_f16 v3, v4, v3
	s_waitcnt vmcnt(0)
	ds_store_2addr_b32 v2, v3, v1 offset1:60
	v_lshrrev_b32_e32 v1, 16, v15
	v_lshrrev_b32_e32 v3, 16, v138
	s_delay_alu instid0(VALU_DEP_1) | instskip(NEXT) | instid1(VALU_DEP_3)
	v_mul_f16_e32 v2, v3, v15
	v_mul_f16_e32 v3, v3, v1
	s_delay_alu instid0(VALU_DEP_2) | instskip(NEXT) | instid1(VALU_DEP_2)
	v_fma_f16 v1, v138, v1, -v2
	v_fmac_f16_e64 v3, v138, v15
	s_delay_alu instid0(VALU_DEP_1) | instskip(SKIP_1) | instid1(VALU_DEP_2)
	v_sub_f16_e32 v2, v14, v3
	v_lshrrev_b32_e32 v3, 16, v14
	v_fma_f16 v4, v14, 2.0, -v2
	s_delay_alu instid0(VALU_DEP_2) | instskip(NEXT) | instid1(VALU_DEP_1)
	v_sub_f16_e32 v1, v3, v1
	v_fma_f16 v3, v3, 2.0, -v1
	v_pack_b32_f16 v1, v2, v1
	scratch_load_b32 v2, off, off offset:212 ; 4-byte Folded Reload
	v_pack_b32_f16 v3, v4, v3
	s_waitcnt vmcnt(0)
	ds_store_2addr_b32 v2, v3, v1 offset1:60
	v_lshrrev_b32_e32 v1, 16, v16
	v_lshrrev_b32_e32 v3, 16, v146
	s_delay_alu instid0(VALU_DEP_1) | instskip(SKIP_1) | instid1(VALU_DEP_2)
	v_mul_f16_e32 v2, v3, v1
	v_mul_f16_e32 v3, v3, v16
	v_fmac_f16_e64 v2, v146, v16
	s_delay_alu instid0(VALU_DEP_2) | instskip(SKIP_1) | instid1(VALU_DEP_3)
	v_fma_f16 v1, v146, v1, -v3
	v_lshrrev_b32_e32 v3, 16, v17
	v_sub_f16_e32 v2, v17, v2
	s_delay_alu instid0(VALU_DEP_2) | instskip(NEXT) | instid1(VALU_DEP_2)
	v_sub_f16_e32 v1, v3, v1
	v_fma_f16 v4, v17, 2.0, -v2
	s_delay_alu instid0(VALU_DEP_2)
	v_fma_f16 v3, v3, 2.0, -v1
	v_pack_b32_f16 v1, v2, v1
	scratch_load_b32 v2, off, off offset:216 ; 4-byte Folded Reload
	v_pack_b32_f16 v3, v4, v3
	s_waitcnt vmcnt(0)
	ds_store_2addr_b32 v2, v3, v1 offset1:60
	v_lshrrev_b32_e32 v1, 16, v19
	v_lshrrev_b32_e32 v3, 16, v143
	s_delay_alu instid0(VALU_DEP_1) | instskip(NEXT) | instid1(VALU_DEP_3)
	v_mul_f16_e32 v2, v3, v19
	v_mul_f16_e32 v3, v3, v1
	s_delay_alu instid0(VALU_DEP_2) | instskip(NEXT) | instid1(VALU_DEP_2)
	v_fma_f16 v1, v143, v1, -v2
	v_fmac_f16_e64 v3, v143, v19
	s_delay_alu instid0(VALU_DEP_1) | instskip(SKIP_1) | instid1(VALU_DEP_2)
	v_sub_f16_e32 v2, v18, v3
	v_lshrrev_b32_e32 v3, 16, v18
	v_fma_f16 v4, v18, 2.0, -v2
	s_delay_alu instid0(VALU_DEP_2) | instskip(NEXT) | instid1(VALU_DEP_1)
	v_sub_f16_e32 v1, v3, v1
	v_fma_f16 v3, v3, 2.0, -v1
	v_pack_b32_f16 v1, v2, v1
	scratch_load_b32 v2, off, off offset:220 ; 4-byte Folded Reload
	v_pack_b32_f16 v3, v4, v3
	s_waitcnt vmcnt(0)
	ds_store_2addr_b32 v2, v3, v1 offset1:60
	v_lshrrev_b32_e32 v1, 16, v20
	v_lshrrev_b32_e32 v3, 16, v141
	s_delay_alu instid0(VALU_DEP_1) | instskip(SKIP_1) | instid1(VALU_DEP_2)
	v_mul_f16_e32 v2, v3, v1
	v_mul_f16_e32 v3, v3, v20
	v_fmac_f16_e64 v2, v141, v20
	s_delay_alu instid0(VALU_DEP_2) | instskip(SKIP_1) | instid1(VALU_DEP_3)
	v_fma_f16 v1, v141, v1, -v3
	v_lshrrev_b32_e32 v3, 16, v22
	v_sub_f16_e32 v2, v22, v2
	s_delay_alu instid0(VALU_DEP_2) | instskip(NEXT) | instid1(VALU_DEP_2)
	v_sub_f16_e32 v1, v3, v1
	v_fma_f16 v4, v22, 2.0, -v2
	s_delay_alu instid0(VALU_DEP_2)
	v_fma_f16 v3, v3, 2.0, -v1
	v_pack_b32_f16 v1, v2, v1
	scratch_load_b32 v2, off, off offset:224 ; 4-byte Folded Reload
	v_pack_b32_f16 v3, v4, v3
	s_waitcnt vmcnt(0)
	ds_store_2addr_b32 v2, v3, v1 offset1:60
	v_lshrrev_b32_e32 v1, 16, v24
	v_lshrrev_b32_e32 v3, 16, v139
	s_delay_alu instid0(VALU_DEP_1) | instskip(NEXT) | instid1(VALU_DEP_3)
	v_mul_f16_e32 v2, v3, v24
	v_mul_f16_e32 v3, v3, v1
	s_delay_alu instid0(VALU_DEP_2) | instskip(NEXT) | instid1(VALU_DEP_2)
	v_fma_f16 v1, v139, v1, -v2
	v_fmac_f16_e64 v3, v139, v24
	s_delay_alu instid0(VALU_DEP_1) | instskip(SKIP_1) | instid1(VALU_DEP_2)
	v_sub_f16_e32 v2, v23, v3
	v_lshrrev_b32_e32 v3, 16, v23
	v_fma_f16 v4, v23, 2.0, -v2
	s_delay_alu instid0(VALU_DEP_2) | instskip(NEXT) | instid1(VALU_DEP_1)
	v_sub_f16_e32 v1, v3, v1
	v_fma_f16 v3, v3, 2.0, -v1
	v_pack_b32_f16 v1, v2, v1
	scratch_load_b32 v2, off, off offset:228 ; 4-byte Folded Reload
	v_pack_b32_f16 v3, v4, v3
	s_waitcnt vmcnt(0)
	ds_store_2addr_b32 v2, v3, v1 offset1:60
	v_lshrrev_b32_e32 v1, 16, v25
	v_lshrrev_b32_e32 v3, 16, v137
	s_delay_alu instid0(VALU_DEP_1) | instskip(SKIP_1) | instid1(VALU_DEP_2)
	v_mul_f16_e32 v2, v3, v1
	v_mul_f16_e32 v3, v3, v25
	v_fmac_f16_e64 v2, v137, v25
	s_delay_alu instid0(VALU_DEP_2) | instskip(SKIP_1) | instid1(VALU_DEP_3)
	v_fma_f16 v1, v137, v1, -v3
	v_lshrrev_b32_e32 v3, 16, v26
	v_sub_f16_e32 v2, v26, v2
	s_delay_alu instid0(VALU_DEP_2) | instskip(NEXT) | instid1(VALU_DEP_2)
	v_sub_f16_e32 v1, v3, v1
	v_fma_f16 v4, v26, 2.0, -v2
	s_delay_alu instid0(VALU_DEP_2)
	v_fma_f16 v3, v3, 2.0, -v1
	v_pack_b32_f16 v1, v2, v1
	scratch_load_b32 v2, off, off offset:232 ; 4-byte Folded Reload
	v_pack_b32_f16 v3, v4, v3
	s_waitcnt vmcnt(0)
	ds_store_2addr_b32 v2, v3, v1 offset1:60
	v_lshrrev_b32_e32 v1, 16, v28
	v_lshrrev_b32_e32 v3, 16, v135
	s_delay_alu instid0(VALU_DEP_1) | instskip(NEXT) | instid1(VALU_DEP_3)
	v_mul_f16_e32 v2, v3, v28
	v_mul_f16_e32 v3, v3, v1
	s_delay_alu instid0(VALU_DEP_2) | instskip(NEXT) | instid1(VALU_DEP_2)
	v_fma_f16 v1, v135, v1, -v2
	v_fmac_f16_e64 v3, v135, v28
	s_delay_alu instid0(VALU_DEP_1) | instskip(SKIP_1) | instid1(VALU_DEP_2)
	v_sub_f16_e32 v2, v27, v3
	v_lshrrev_b32_e32 v3, 16, v27
	v_fma_f16 v4, v27, 2.0, -v2
	s_delay_alu instid0(VALU_DEP_2) | instskip(NEXT) | instid1(VALU_DEP_1)
	v_sub_f16_e32 v1, v3, v1
	v_fma_f16 v3, v3, 2.0, -v1
	v_pack_b32_f16 v1, v2, v1
	scratch_load_b32 v2, off, off offset:236 ; 4-byte Folded Reload
	v_pack_b32_f16 v3, v4, v3
	s_waitcnt vmcnt(0)
	ds_store_2addr_b32 v2, v3, v1 offset1:60
	v_lshrrev_b32_e32 v1, 16, v29
	v_lshrrev_b32_e32 v3, 16, v134
	s_delay_alu instid0(VALU_DEP_1) | instskip(SKIP_1) | instid1(VALU_DEP_2)
	v_mul_f16_e32 v2, v3, v1
	v_mul_f16_e32 v3, v3, v29
	v_fmac_f16_e64 v2, v134, v29
	s_delay_alu instid0(VALU_DEP_2) | instskip(SKIP_1) | instid1(VALU_DEP_3)
	v_fma_f16 v1, v134, v1, -v3
	v_lshrrev_b32_e32 v3, 16, v0
	v_sub_f16_e32 v2, v0, v2
	s_delay_alu instid0(VALU_DEP_2) | instskip(NEXT) | instid1(VALU_DEP_2)
	v_sub_f16_e32 v1, v3, v1
	v_fma_f16 v0, v0, 2.0, -v2
	s_delay_alu instid0(VALU_DEP_2)
	v_fma_f16 v3, v3, 2.0, -v1
	v_pack_b32_f16 v1, v2, v1
	scratch_load_b32 v2, off, off offset:240 ; 4-byte Folded Reload
	v_pack_b32_f16 v0, v0, v3
	s_waitcnt vmcnt(0)
	ds_store_2addr_b32 v2, v0, v1 offset1:60
	s_waitcnt lgkmcnt(0)
	s_barrier
	buffer_gl0_inv
	ds_load_2addr_stride64_b32 v[0:1], v58 offset0:28 offset1:30
	s_waitcnt lgkmcnt(0)
	v_lshrrev_b32_e32 v2, 16, v1
	v_mul_f16_e64 v3, v191, v1
	s_delay_alu instid0(VALU_DEP_2) | instskip(NEXT) | instid1(VALU_DEP_2)
	v_mul_f16_e64 v4, v191, v2
	v_fma_f16 v3, v230, v2, -v3
	s_delay_alu instid0(VALU_DEP_2) | instskip(SKIP_4) | instid1(VALU_DEP_2)
	v_fmac_f16_e64 v4, v230, v1
	ds_load_2addr_stride64_b32 v[1:2], v58 offset1:2
	s_waitcnt lgkmcnt(0)
	v_lshrrev_b32_e32 v5, 16, v1
	v_sub_f16_e32 v4, v1, v4
	v_sub_f16_e32 v3, v5, v3
	s_delay_alu instid0(VALU_DEP_2) | instskip(NEXT) | instid1(VALU_DEP_2)
	v_fma_f16 v1, v1, 2.0, -v4
	v_fma_f16 v5, v5, 2.0, -v3
	v_pack_b32_f16 v30, v4, v3
	s_delay_alu instid0(VALU_DEP_2)
	v_pack_b32_f16 v1, v1, v5
	ds_load_2addr_stride64_b32 v[3:4], v58 offset0:32 offset1:34
	ds_load_2addr_stride64_b32 v[5:6], v58 offset0:4 offset1:6
	;; [unrolled: 1-line block ×13, first 2 shown]
	s_waitcnt lgkmcnt(0)
	s_barrier
	buffer_gl0_inv
	scratch_load_b32 v31, off, off offset:244 ; 4-byte Folded Reload
	s_waitcnt vmcnt(0)
	ds_store_2addr_b32 v31, v1, v30 offset1:120
	v_lshrrev_b32_e32 v1, 16, v3
	v_lshrrev_b32_e32 v31, 16, v222
	s_delay_alu instid0(VALU_DEP_1) | instskip(NEXT) | instid1(VALU_DEP_3)
	v_mul_f16_e32 v30, v31, v3
	v_mul_f16_e32 v31, v31, v1
	s_delay_alu instid0(VALU_DEP_2) | instskip(NEXT) | instid1(VALU_DEP_2)
	v_fma_f16 v1, v222, v1, -v30
	v_fmac_f16_e64 v31, v222, v3
	v_lshrrev_b32_e32 v30, 16, v2
	s_delay_alu instid0(VALU_DEP_2) | instskip(NEXT) | instid1(VALU_DEP_2)
	v_sub_f16_e32 v3, v2, v31
	v_sub_f16_e32 v1, v30, v1
	s_delay_alu instid0(VALU_DEP_2) | instskip(NEXT) | instid1(VALU_DEP_2)
	v_fma_f16 v2, v2, 2.0, -v3
	v_fma_f16 v30, v30, 2.0, -v1
	v_pack_b32_f16 v1, v3, v1
	scratch_load_b32 v3, off, off offset:248 ; 4-byte Folded Reload
	v_pack_b32_f16 v2, v2, v30
	s_waitcnt vmcnt(0)
	ds_store_2addr_b32 v3, v2, v1 offset1:120
	v_lshrrev_b32_e32 v1, 16, v4
	v_lshrrev_b32_e32 v3, 16, v224
	s_delay_alu instid0(VALU_DEP_1) | instskip(SKIP_1) | instid1(VALU_DEP_2)
	v_mul_f16_e32 v2, v3, v1
	v_mul_f16_e32 v3, v3, v4
	v_fmac_f16_e64 v2, v224, v4
	s_delay_alu instid0(VALU_DEP_2) | instskip(SKIP_1) | instid1(VALU_DEP_3)
	v_fma_f16 v1, v224, v1, -v3
	v_lshrrev_b32_e32 v3, 16, v5
	v_sub_f16_e32 v2, v5, v2
	s_delay_alu instid0(VALU_DEP_2) | instskip(NEXT) | instid1(VALU_DEP_2)
	v_sub_f16_e32 v1, v3, v1
	v_fma_f16 v4, v5, 2.0, -v2
	s_delay_alu instid0(VALU_DEP_2)
	v_fma_f16 v3, v3, 2.0, -v1
	v_pack_b32_f16 v1, v2, v1
	scratch_load_b32 v2, off, off offset:252 ; 4-byte Folded Reload
	v_pack_b32_f16 v3, v4, v3
	s_waitcnt vmcnt(0)
	ds_store_2addr_b32 v2, v3, v1 offset1:120
	v_lshrrev_b32_e32 v1, 16, v7
	v_lshrrev_b32_e32 v3, 16, v225
	s_delay_alu instid0(VALU_DEP_1) | instskip(NEXT) | instid1(VALU_DEP_3)
	v_mul_f16_e32 v2, v3, v7
	v_mul_f16_e32 v3, v3, v1
	s_delay_alu instid0(VALU_DEP_2) | instskip(NEXT) | instid1(VALU_DEP_2)
	v_fma_f16 v1, v225, v1, -v2
	v_fmac_f16_e64 v3, v225, v7
	s_delay_alu instid0(VALU_DEP_1) | instskip(SKIP_1) | instid1(VALU_DEP_2)
	v_sub_f16_e32 v2, v6, v3
	v_lshrrev_b32_e32 v3, 16, v6
	v_fma_f16 v4, v6, 2.0, -v2
	s_delay_alu instid0(VALU_DEP_2) | instskip(NEXT) | instid1(VALU_DEP_1)
	v_sub_f16_e32 v1, v3, v1
	v_fma_f16 v3, v3, 2.0, -v1
	v_pack_b32_f16 v1, v2, v1
	scratch_load_b32 v2, off, off offset:256 ; 4-byte Folded Reload
	v_pack_b32_f16 v3, v4, v3
	s_waitcnt vmcnt(0)
	ds_store_2addr_b32 v2, v3, v1 offset1:120
	v_lshrrev_b32_e32 v1, 16, v8
	v_lshrrev_b32_e32 v3, 16, v221
	s_delay_alu instid0(VALU_DEP_1) | instskip(SKIP_1) | instid1(VALU_DEP_2)
	v_mul_f16_e32 v2, v3, v1
	v_mul_f16_e32 v3, v3, v8
	v_fmac_f16_e64 v2, v221, v8
	s_delay_alu instid0(VALU_DEP_2) | instskip(SKIP_1) | instid1(VALU_DEP_3)
	v_fma_f16 v1, v221, v1, -v3
	v_lshrrev_b32_e32 v3, 16, v9
	v_sub_f16_e32 v2, v9, v2
	s_delay_alu instid0(VALU_DEP_2) | instskip(NEXT) | instid1(VALU_DEP_2)
	v_sub_f16_e32 v1, v3, v1
	v_fma_f16 v4, v9, 2.0, -v2
	s_delay_alu instid0(VALU_DEP_2)
	v_fma_f16 v3, v3, 2.0, -v1
	v_pack_b32_f16 v1, v2, v1
	scratch_load_b32 v2, off, off offset:260 ; 4-byte Folded Reload
	v_pack_b32_f16 v3, v4, v3
	s_waitcnt vmcnt(0)
	ds_store_2addr_b32 v2, v3, v1 offset1:120
	v_lshrrev_b32_e32 v1, 16, v11
	v_lshrrev_b32_e32 v3, 16, v219
	s_delay_alu instid0(VALU_DEP_1) | instskip(NEXT) | instid1(VALU_DEP_3)
	v_mul_f16_e32 v2, v3, v11
	v_mul_f16_e32 v3, v3, v1
	s_delay_alu instid0(VALU_DEP_2) | instskip(NEXT) | instid1(VALU_DEP_2)
	v_fma_f16 v1, v219, v1, -v2
	v_fmac_f16_e64 v3, v219, v11
	s_delay_alu instid0(VALU_DEP_1) | instskip(SKIP_1) | instid1(VALU_DEP_2)
	v_sub_f16_e32 v2, v10, v3
	v_lshrrev_b32_e32 v3, 16, v10
	v_fma_f16 v4, v10, 2.0, -v2
	s_delay_alu instid0(VALU_DEP_2) | instskip(NEXT) | instid1(VALU_DEP_1)
	v_sub_f16_e32 v1, v3, v1
	v_fma_f16 v3, v3, 2.0, -v1
	v_pack_b32_f16 v1, v2, v1
	scratch_load_b32 v2, off, off offset:264 ; 4-byte Folded Reload
	v_pack_b32_f16 v3, v4, v3
	s_waitcnt vmcnt(0)
	ds_store_2addr_b32 v2, v3, v1 offset1:120
	v_lshrrev_b32_e32 v1, 16, v12
	v_mul_f16_e64 v3, v243, v12
	s_delay_alu instid0(VALU_DEP_2) | instskip(NEXT) | instid1(VALU_DEP_2)
	v_mul_f16_e64 v2, v243, v1
	v_fma_f16 v1, v217, v1, -v3
	v_lshrrev_b32_e32 v3, 16, v13
	s_delay_alu instid0(VALU_DEP_3) | instskip(NEXT) | instid1(VALU_DEP_2)
	v_fmac_f16_e64 v2, v217, v12
	v_sub_f16_e32 v1, v3, v1
	s_delay_alu instid0(VALU_DEP_2) | instskip(NEXT) | instid1(VALU_DEP_2)
	v_sub_f16_e32 v2, v13, v2
	v_fma_f16 v3, v3, 2.0, -v1
	s_delay_alu instid0(VALU_DEP_2)
	v_fma_f16 v4, v13, 2.0, -v2
	v_pack_b32_f16 v1, v2, v1
	scratch_load_b32 v2, off, off offset:268 ; 4-byte Folded Reload
	v_pack_b32_f16 v3, v4, v3
	s_waitcnt vmcnt(0)
	ds_store_2addr_b32 v2, v3, v1 offset1:120
	v_lshrrev_b32_e32 v1, 16, v15
	v_mul_f16_e64 v2, v245, v15
	s_delay_alu instid0(VALU_DEP_2) | instskip(NEXT) | instid1(VALU_DEP_2)
	v_mul_f16_e64 v3, v245, v1
	v_fma_f16 v1, v215, v1, -v2
	s_delay_alu instid0(VALU_DEP_2) | instskip(NEXT) | instid1(VALU_DEP_1)
	v_fmac_f16_e64 v3, v215, v15
	v_sub_f16_e32 v2, v14, v3
	v_lshrrev_b32_e32 v3, 16, v14
	s_delay_alu instid0(VALU_DEP_2) | instskip(NEXT) | instid1(VALU_DEP_2)
	v_fma_f16 v4, v14, 2.0, -v2
	v_sub_f16_e32 v1, v3, v1
	s_delay_alu instid0(VALU_DEP_1)
	v_fma_f16 v3, v3, 2.0, -v1
	v_pack_b32_f16 v1, v2, v1
	scratch_load_b32 v2, off, off offset:272 ; 4-byte Folded Reload
	v_pack_b32_f16 v3, v4, v3
	s_waitcnt vmcnt(0)
	ds_store_2addr_b32 v2, v3, v1 offset1:120
	v_lshrrev_b32_e32 v1, 16, v16
	v_mul_f16_e64 v3, v247, v16
	s_delay_alu instid0(VALU_DEP_2) | instskip(NEXT) | instid1(VALU_DEP_2)
	v_mul_f16_e64 v2, v247, v1
	v_fma_f16 v1, v223, v1, -v3
	v_lshrrev_b32_e32 v3, 16, v17
	s_delay_alu instid0(VALU_DEP_3) | instskip(NEXT) | instid1(VALU_DEP_2)
	v_fmac_f16_e64 v2, v223, v16
	v_sub_f16_e32 v1, v3, v1
	s_delay_alu instid0(VALU_DEP_2) | instskip(NEXT) | instid1(VALU_DEP_2)
	v_sub_f16_e32 v2, v17, v2
	v_fma_f16 v3, v3, 2.0, -v1
	s_delay_alu instid0(VALU_DEP_2)
	v_fma_f16 v4, v17, 2.0, -v2
	v_pack_b32_f16 v1, v2, v1
	scratch_load_b32 v2, off, off offset:276 ; 4-byte Folded Reload
	v_pack_b32_f16 v3, v4, v3
	s_waitcnt vmcnt(0)
	ds_store_2addr_b32 v2, v3, v1 offset1:120
	v_lshrrev_b32_e32 v1, 16, v19
	v_mul_f16_e64 v2, v249, v19
	s_delay_alu instid0(VALU_DEP_2) | instskip(NEXT) | instid1(VALU_DEP_2)
	v_mul_f16_e64 v3, v249, v1
	v_fma_f16 v1, v220, v1, -v2
	s_delay_alu instid0(VALU_DEP_2) | instskip(NEXT) | instid1(VALU_DEP_1)
	v_fmac_f16_e64 v3, v220, v19
	v_sub_f16_e32 v2, v18, v3
	v_lshrrev_b32_e32 v3, 16, v18
	s_delay_alu instid0(VALU_DEP_2) | instskip(NEXT) | instid1(VALU_DEP_2)
	v_fma_f16 v4, v18, 2.0, -v2
	v_sub_f16_e32 v1, v3, v1
	s_delay_alu instid0(VALU_DEP_1)
	;; [unrolled: 38-line block ×4, first 2 shown]
	v_fma_f16 v3, v3, 2.0, -v1
	v_pack_b32_f16 v1, v2, v1
	scratch_load_b32 v2, off, off offset:296 ; 4-byte Folded Reload
	v_pack_b32_f16 v3, v4, v3
	s_waitcnt vmcnt(0)
	ds_store_2addr_b32 v2, v3, v1 offset1:120
	v_lshrrev_b32_e32 v1, 16, v29
	v_mul_f16_e64 v3, v188, v29
	s_delay_alu instid0(VALU_DEP_2) | instskip(NEXT) | instid1(VALU_DEP_2)
	v_mul_f16_e64 v2, v188, v1
	v_fma_f16 v1, v211, v1, -v3
	v_lshrrev_b32_e32 v3, 16, v0
	s_delay_alu instid0(VALU_DEP_3) | instskip(NEXT) | instid1(VALU_DEP_2)
	v_fmac_f16_e64 v2, v211, v29
	v_sub_f16_e32 v1, v3, v1
	s_delay_alu instid0(VALU_DEP_2) | instskip(NEXT) | instid1(VALU_DEP_2)
	v_sub_f16_e32 v2, v0, v2
	v_fma_f16 v3, v3, 2.0, -v1
	s_delay_alu instid0(VALU_DEP_2)
	v_fma_f16 v0, v0, 2.0, -v2
	v_pack_b32_f16 v1, v2, v1
	scratch_load_b32 v2, off, off offset:300 ; 4-byte Folded Reload
	v_pack_b32_f16 v0, v0, v3
	s_waitcnt vmcnt(0)
	ds_store_2addr_b32 v2, v0, v1 offset1:120
	s_waitcnt lgkmcnt(0)
	s_barrier
	buffer_gl0_inv
	ds_load_2addr_stride64_b32 v[0:1], v58 offset0:28 offset1:30
	s_waitcnt lgkmcnt(0)
	v_lshrrev_b32_e32 v2, 16, v1
	v_mul_f16_e32 v3, v121, v1
	s_delay_alu instid0(VALU_DEP_2) | instskip(NEXT) | instid1(VALU_DEP_2)
	v_mul_f16_e32 v4, v121, v2
	v_fma_f16 v3, v50, v2, -v3
	s_delay_alu instid0(VALU_DEP_2) | instskip(SKIP_4) | instid1(VALU_DEP_2)
	v_fmac_f16_e32 v4, v50, v1
	ds_load_2addr_stride64_b32 v[1:2], v58 offset1:2
	s_waitcnt lgkmcnt(0)
	v_lshrrev_b32_e32 v5, 16, v1
	v_sub_f16_e32 v4, v1, v4
	v_sub_f16_e32 v3, v5, v3
	s_delay_alu instid0(VALU_DEP_2) | instskip(NEXT) | instid1(VALU_DEP_2)
	v_fma_f16 v1, v1, 2.0, -v4
	v_fma_f16 v5, v5, 2.0, -v3
	v_pack_b32_f16 v30, v4, v3
	s_delay_alu instid0(VALU_DEP_2)
	v_pack_b32_f16 v1, v1, v5
	ds_load_2addr_stride64_b32 v[3:4], v58 offset0:32 offset1:34
	ds_load_2addr_stride64_b32 v[5:6], v58 offset0:4 offset1:6
	ds_load_2addr_stride64_b32 v[7:8], v58 offset0:36 offset1:38
	ds_load_2addr_stride64_b32 v[9:10], v58 offset0:8 offset1:10
	ds_load_2addr_stride64_b32 v[11:12], v58 offset0:40 offset1:42
	ds_load_2addr_stride64_b32 v[13:14], v58 offset0:12 offset1:14
	ds_load_2addr_stride64_b32 v[15:16], v58 offset0:44 offset1:46
	ds_load_2addr_stride64_b32 v[17:18], v58 offset0:16 offset1:18
	ds_load_2addr_stride64_b32 v[19:20], v58 offset0:48 offset1:50
	ds_load_2addr_stride64_b32 v[22:23], v58 offset0:20 offset1:22
	ds_load_2addr_stride64_b32 v[24:25], v58 offset0:52 offset1:54
	ds_load_2addr_stride64_b32 v[26:27], v58 offset0:24 offset1:26
	ds_load_2addr_stride64_b32 v[28:29], v58 offset0:56 offset1:58
	s_waitcnt lgkmcnt(0)
	s_barrier
	buffer_gl0_inv
	ds_store_2addr_b32 v58, v1, v30 offset1:240
	v_lshrrev_b32_e32 v1, 16, v3
	v_mul_f16_e64 v30, v166, v3
	s_delay_alu instid0(VALU_DEP_2) | instskip(NEXT) | instid1(VALU_DEP_2)
	v_mul_f16_e64 v31, v166, v1
	v_fma_f16 v1, v75, v1, -v30
	v_lshrrev_b32_e32 v30, 16, v2
	s_delay_alu instid0(VALU_DEP_3) | instskip(NEXT) | instid1(VALU_DEP_2)
	v_fmac_f16_e32 v31, v75, v3
	v_sub_f16_e32 v1, v30, v1
	s_delay_alu instid0(VALU_DEP_2) | instskip(NEXT) | instid1(VALU_DEP_2)
	v_sub_f16_e32 v3, v2, v31
	v_fma_f16 v30, v30, 2.0, -v1
	s_delay_alu instid0(VALU_DEP_2)
	v_fma_f16 v2, v2, 2.0, -v3
	v_pack_b32_f16 v1, v3, v1
	scratch_load_b32 v3, off, off offset:324 ; 4-byte Folded Reload
	v_pack_b32_f16 v2, v2, v30
	s_waitcnt vmcnt(0)
	ds_store_2addr_b32 v3, v2, v1 offset1:240
	v_lshrrev_b32_e32 v1, 16, v4
	v_mul_f16_e64 v3, v163, v4
	s_delay_alu instid0(VALU_DEP_2) | instskip(NEXT) | instid1(VALU_DEP_2)
	v_mul_f16_e64 v2, v163, v1
	v_fma_f16 v1, v64, v1, -v3
	v_lshrrev_b32_e32 v3, 16, v5
	s_delay_alu instid0(VALU_DEP_3) | instskip(NEXT) | instid1(VALU_DEP_2)
	v_fmac_f16_e32 v2, v64, v4
	v_sub_f16_e32 v1, v3, v1
	s_delay_alu instid0(VALU_DEP_2) | instskip(NEXT) | instid1(VALU_DEP_2)
	v_sub_f16_e32 v2, v5, v2
	v_fma_f16 v3, v3, 2.0, -v1
	s_delay_alu instid0(VALU_DEP_2) | instskip(SKIP_2) | instid1(VALU_DEP_3)
	v_fma_f16 v4, v5, 2.0, -v2
	v_pack_b32_f16 v1, v2, v1
	v_add_nc_u32_e32 v2, 0x7c0, v58
	v_pack_b32_f16 v3, v4, v3
	ds_store_2addr_b32 v2, v3, v1 offset1:240
	v_lshrrev_b32_e32 v1, 16, v7
	v_mul_f16_e64 v2, v162, v7
	s_delay_alu instid0(VALU_DEP_2) | instskip(NEXT) | instid1(VALU_DEP_2)
	v_mul_f16_e64 v3, v162, v1
	v_fma_f16 v1, v72, v1, -v2
	s_delay_alu instid0(VALU_DEP_2) | instskip(NEXT) | instid1(VALU_DEP_1)
	v_fmac_f16_e32 v3, v72, v7
	v_sub_f16_e32 v2, v6, v3
	v_lshrrev_b32_e32 v3, 16, v6
	s_delay_alu instid0(VALU_DEP_2) | instskip(NEXT) | instid1(VALU_DEP_2)
	v_fma_f16 v4, v6, 2.0, -v2
	v_sub_f16_e32 v1, v3, v1
	s_delay_alu instid0(VALU_DEP_1)
	v_fma_f16 v3, v3, 2.0, -v1
	v_pack_b32_f16 v1, v2, v1
	scratch_load_b32 v2, off, off offset:328 ; 4-byte Folded Reload
	v_pack_b32_f16 v3, v4, v3
	s_waitcnt vmcnt(0)
	ds_store_2addr_b32 v2, v3, v1 offset1:240
	v_lshrrev_b32_e32 v1, 16, v8
	v_mul_f16_e64 v3, v161, v8
	s_delay_alu instid0(VALU_DEP_2) | instskip(NEXT) | instid1(VALU_DEP_2)
	v_mul_f16_e64 v2, v161, v1
	v_fma_f16 v1, v68, v1, -v3
	v_lshrrev_b32_e32 v3, 16, v9
	s_delay_alu instid0(VALU_DEP_3) | instskip(NEXT) | instid1(VALU_DEP_2)
	v_fmac_f16_e32 v2, v68, v8
	v_sub_f16_e32 v1, v3, v1
	s_delay_alu instid0(VALU_DEP_2) | instskip(NEXT) | instid1(VALU_DEP_2)
	v_sub_f16_e32 v2, v9, v2
	v_fma_f16 v3, v3, 2.0, -v1
	s_delay_alu instid0(VALU_DEP_2)
	v_fma_f16 v4, v9, 2.0, -v2
	v_pack_b32_f16 v1, v2, v1
	scratch_load_b32 v2, off, off offset:332 ; 4-byte Folded Reload
	v_pack_b32_f16 v3, v4, v3
	s_waitcnt vmcnt(0)
	ds_store_2addr_b32 v2, v3, v1 offset1:240
	v_lshrrev_b32_e32 v1, 16, v11
	v_mul_f16_e64 v2, v160, v11
	s_delay_alu instid0(VALU_DEP_2) | instskip(NEXT) | instid1(VALU_DEP_2)
	v_mul_f16_e64 v3, v160, v1
	v_fma_f16 v1, v67, v1, -v2
	s_delay_alu instid0(VALU_DEP_2) | instskip(NEXT) | instid1(VALU_DEP_1)
	v_fmac_f16_e32 v3, v67, v11
	v_sub_f16_e32 v2, v10, v3
	v_lshrrev_b32_e32 v3, 16, v10
	s_delay_alu instid0(VALU_DEP_2) | instskip(NEXT) | instid1(VALU_DEP_2)
	v_fma_f16 v4, v10, 2.0, -v2
	v_sub_f16_e32 v1, v3, v1
	s_delay_alu instid0(VALU_DEP_1)
	v_fma_f16 v3, v3, 2.0, -v1
	v_pack_b32_f16 v1, v2, v1
	scratch_load_b32 v2, off, off offset:336 ; 4-byte Folded Reload
	v_pack_b32_f16 v3, v4, v3
	s_waitcnt vmcnt(0)
	ds_store_2addr_b32 v2, v3, v1 offset1:240
	v_lshrrev_b32_e32 v1, 16, v12
	v_mul_f16_e64 v3, v158, v12
	s_delay_alu instid0(VALU_DEP_2) | instskip(NEXT) | instid1(VALU_DEP_2)
	v_mul_f16_e64 v2, v158, v1
	v_fma_f16 v1, v73, v1, -v3
	v_lshrrev_b32_e32 v3, 16, v13
	s_delay_alu instid0(VALU_DEP_3) | instskip(NEXT) | instid1(VALU_DEP_2)
	v_fmac_f16_e32 v2, v73, v12
	v_sub_f16_e32 v1, v3, v1
	s_delay_alu instid0(VALU_DEP_2) | instskip(NEXT) | instid1(VALU_DEP_2)
	v_sub_f16_e32 v2, v13, v2
	v_fma_f16 v3, v3, 2.0, -v1
	s_delay_alu instid0(VALU_DEP_2)
	v_fma_f16 v4, v13, 2.0, -v2
	v_pack_b32_f16 v1, v2, v1
	scratch_load_b32 v2, off, off offset:340 ; 4-byte Folded Reload
	v_pack_b32_f16 v3, v4, v3
	s_waitcnt vmcnt(0)
	;; [unrolled: 38-line block ×6, first 2 shown]
	ds_store_2addr_b32 v2, v0, v1 offset1:240
	s_waitcnt lgkmcnt(0)
	s_barrier
	buffer_gl0_inv
	ds_load_2addr_stride64_b32 v[0:1], v58 offset0:32 offset1:34
	s_waitcnt lgkmcnt(0)
	v_lshrrev_b32_e32 v2, 16, v1
	v_mul_f16_e32 v3, v93, v1
	s_delay_alu instid0(VALU_DEP_2) | instskip(NEXT) | instid1(VALU_DEP_2)
	v_mul_f16_e32 v4, v93, v2
	v_fma_f16 v5, v21, v2, -v3
	s_delay_alu instid0(VALU_DEP_2) | instskip(SKIP_4) | instid1(VALU_DEP_2)
	v_fmac_f16_e32 v4, v21, v1
	ds_load_2addr_stride64_b32 v[1:2], v58 offset0:28 offset1:30
	s_waitcnt lgkmcnt(0)
	v_lshrrev_b32_e32 v3, 16, v2
	v_mul_f16_e32 v6, v112, v2
	v_mul_f16_e32 v7, v112, v3
	s_delay_alu instid0(VALU_DEP_2) | instskip(NEXT) | instid1(VALU_DEP_2)
	v_fma_f16 v6, v48, v3, -v6
	v_fmac_f16_e32 v7, v48, v2
	ds_load_2addr_stride64_b32 v[2:3], v58 offset0:4 offset1:6
	s_waitcnt lgkmcnt(0)
	v_lshrrev_b32_e32 v8, 16, v2
	v_sub_f16_e32 v29, v2, v4
	s_delay_alu instid0(VALU_DEP_2) | instskip(NEXT) | instid1(VALU_DEP_2)
	v_sub_f16_e32 v28, v8, v5
	v_fma_f16 v2, v2, 2.0, -v29
	s_delay_alu instid0(VALU_DEP_2) | instskip(NEXT) | instid1(VALU_DEP_1)
	v_fma_f16 v4, v8, 2.0, -v28
	v_pack_b32_f16 v2, v2, v4
	ds_load_2addr_stride64_b32 v[4:5], v58 offset1:2
	s_waitcnt lgkmcnt(0)
	v_lshrrev_b32_e32 v31, 16, v4
	v_sub_f16_e32 v30, v4, v7
	s_delay_alu instid0(VALU_DEP_2)
	v_sub_f16_e32 v32, v31, v6
	ds_load_2addr_stride64_b32 v[6:7], v58 offset0:36 offset1:38
	ds_load_2addr_stride64_b32 v[8:9], v58 offset0:40 offset1:42
	;; [unrolled: 1-line block ×11, first 2 shown]
	s_waitcnt lgkmcnt(0)
	s_barrier
	buffer_gl0_inv
	v_pack_b32_f16 v33, v30, v32
	v_fma_f16 v4, v4, 2.0, -v30
	v_lshrrev_b32_e32 v30, 16, v5
	ds_store_2addr_b32 v34, v2, v33 offset1:224
	v_lshrrev_b32_e32 v2, 16, v0
	v_mul_f16_e64 v34, v172, v0
	v_mul_f16_e32 v36, v126, v7
	s_delay_alu instid0(VALU_DEP_3) | instskip(NEXT) | instid1(VALU_DEP_1)
	v_mul_f16_e64 v33, v172, v2
	v_fmac_f16_e32 v33, v52, v0
	s_delay_alu instid0(VALU_DEP_4) | instskip(SKIP_2) | instid1(VALU_DEP_3)
	v_fma_f16 v0, v52, v2, -v34
	v_lshrrev_b32_e32 v2, 16, v6
	v_mul_f16_e32 v34, v125, v6
	v_sub_f16_e32 v0, v30, v0
	s_delay_alu instid0(VALU_DEP_3) | instskip(NEXT) | instid1(VALU_DEP_3)
	v_mul_f16_e32 v35, v125, v2
	v_fma_f16 v2, v74, v2, -v34
	s_delay_alu instid0(VALU_DEP_2) | instskip(SKIP_1) | instid1(VALU_DEP_1)
	v_fmac_f16_e32 v35, v74, v6
	v_lshrrev_b32_e32 v6, 16, v7
	v_mul_f16_e32 v34, v126, v6
	v_fma_f16 v6, v53, v6, -v36
	s_delay_alu instid0(VALU_DEP_2) | instskip(SKIP_2) | instid1(VALU_DEP_2)
	v_fmac_f16_e32 v34, v53, v7
	v_fma_f16 v7, v31, 2.0, -v32
	v_sub_f16_e32 v31, v5, v33
	v_pack_b32_f16 v4, v4, v7
	s_delay_alu instid0(VALU_DEP_2) | instskip(SKIP_2) | instid1(VALU_DEP_2)
	v_fma_f16 v5, v5, 2.0, -v31
	v_fma_f16 v7, v30, 2.0, -v0
	v_pack_b32_f16 v0, v31, v0
	v_pack_b32_f16 v5, v5, v7
	ds_store_2addr_stride64_b32 v58, v4, v5 offset1:2
	v_pack_b32_f16 v4, v29, v28
	v_lshrrev_b32_e32 v5, 16, v17
	v_mul_f16_e32 v29, v106, v19
	ds_store_2addr_stride64_b32 v165, v0, v4 offset0:9 offset1:11
	v_lshrrev_b32_e32 v4, 16, v3
	v_sub_f16_e32 v0, v3, v35
	s_delay_alu instid0(VALU_DEP_2) | instskip(NEXT) | instid1(VALU_DEP_2)
	v_sub_f16_e32 v2, v4, v2
	v_fma_f16 v3, v3, 2.0, -v0
	s_delay_alu instid0(VALU_DEP_2) | instskip(SKIP_2) | instid1(VALU_DEP_3)
	v_fma_f16 v4, v4, 2.0, -v2
	v_pack_b32_f16 v0, v0, v2
	v_mul_f16_e64 v2, v129, v8
	v_pack_b32_f16 v3, v3, v4
	ds_store_b32 v133, v3
	ds_store_b32 v133, v0 offset:1920
	v_lshrrev_b32_e32 v0, 16, v8
	v_lshrrev_b32_e32 v4, 16, v16
	s_delay_alu instid0(VALU_DEP_2) | instskip(SKIP_2) | instid1(VALU_DEP_4)
	v_mul_f16_e64 v3, v129, v0
	v_fma_f16 v0, v55, v0, -v2
	v_sub_f16_e32 v2, v16, v34
	v_sub_f16_e32 v6, v4, v6
	s_delay_alu instid0(VALU_DEP_4) | instskip(NEXT) | instid1(VALU_DEP_4)
	v_fmac_f16_e32 v3, v55, v8
	v_sub_f16_e32 v0, v5, v0
	s_delay_alu instid0(VALU_DEP_4) | instskip(NEXT) | instid1(VALU_DEP_4)
	v_fma_f16 v7, v16, 2.0, -v2
	v_fma_f16 v4, v4, 2.0, -v6
	v_pack_b32_f16 v2, v2, v6
	v_sub_f16_e32 v3, v17, v3
	v_fma_f16 v5, v5, 2.0, -v0
	v_lshrrev_b32_e32 v6, 16, v20
	v_pack_b32_f16 v4, v7, v4
	v_mul_f16_e64 v7, v128, v9
	v_fma_f16 v8, v17, 2.0, -v3
	v_pack_b32_f16 v0, v3, v0
	v_mul_f16_e32 v16, v105, v13
	s_delay_alu instid0(VALU_DEP_3) | instskip(SKIP_2) | instid1(VALU_DEP_1)
	v_pack_b32_f16 v5, v8, v5
	ds_store_2addr_stride64_b32 v165, v4, v5 offset0:15 offset1:17
	v_lshrrev_b32_e32 v4, 16, v9
	v_mul_f16_e64 v5, v128, v4
	v_fma_f16 v4, v63, v4, -v7
	s_delay_alu instid0(VALU_DEP_2) | instskip(NEXT) | instid1(VALU_DEP_2)
	v_fmac_f16_e32 v5, v63, v9
	v_sub_f16_e32 v4, v6, v4
	v_mul_f16_e32 v9, v111, v11
	s_delay_alu instid0(VALU_DEP_3) | instskip(NEXT) | instid1(VALU_DEP_3)
	v_sub_f16_e32 v5, v20, v5
	v_fma_f16 v6, v6, 2.0, -v4
	s_delay_alu instid0(VALU_DEP_2) | instskip(SKIP_2) | instid1(VALU_DEP_3)
	v_fma_f16 v7, v20, 2.0, -v5
	v_pack_b32_f16 v3, v5, v4
	v_mul_f16_e32 v20, v108, v15
	v_pack_b32_f16 v6, v7, v6
	v_add_nc_u32_e32 v7, 0x1380, v58
	ds_store_2addr_stride64_b32 v58, v0, v3 offset0:25 offset1:27
	v_lshrrev_b32_e32 v3, 16, v21
	ds_store_2addr_b32 v7, v6, v2 offset1:224
	v_lshrrev_b32_e32 v2, 16, v10
	v_mul_f16_e32 v6, v110, v10
	s_delay_alu instid0(VALU_DEP_2) | instskip(NEXT) | instid1(VALU_DEP_2)
	v_mul_f16_e32 v7, v110, v2
	v_fma_f16 v2, v66, v2, -v6
	v_lshrrev_b32_e32 v6, 16, v11
	s_delay_alu instid0(VALU_DEP_3) | instskip(NEXT) | instid1(VALU_DEP_3)
	v_fmac_f16_e32 v7, v66, v10
	v_sub_f16_e32 v2, v3, v2
	s_delay_alu instid0(VALU_DEP_3)
	v_mul_f16_e32 v8, v111, v6
	v_fma_f16 v6, v54, v6, -v9
	v_lshrrev_b32_e32 v9, 16, v12
	v_sub_f16_e32 v0, v21, v7
	v_fma_f16 v3, v3, 2.0, -v2
	v_fmac_f16_e32 v8, v54, v11
	v_mul_f16_e32 v10, v109, v12
	v_mul_f16_e32 v11, v109, v9
	v_fma_f16 v4, v21, 2.0, -v0
	v_pack_b32_f16 v0, v0, v2
	s_delay_alu instid0(VALU_DEP_4) | instskip(NEXT) | instid1(VALU_DEP_4)
	v_fma_f16 v9, v57, v9, -v10
	v_fmac_f16_e32 v11, v57, v12
	s_delay_alu instid0(VALU_DEP_4)
	v_pack_b32_f16 v3, v4, v3
	ds_store_b32 v100, v3
	ds_store_b32 v100, v0 offset:1920
	v_lshrrev_b32_e32 v0, 16, v22
	v_sub_f16_e32 v3, v22, v8
	v_lshrrev_b32_e32 v10, 16, v13
	s_delay_alu instid0(VALU_DEP_3) | instskip(NEXT) | instid1(VALU_DEP_3)
	v_sub_f16_e32 v2, v0, v6
	v_fma_f16 v4, v22, 2.0, -v3
	s_delay_alu instid0(VALU_DEP_3)
	v_mul_f16_e32 v12, v105, v10
	v_fma_f16 v10, v56, v10, -v16
	v_mul_f16_e32 v16, v102, v14
	v_fma_f16 v0, v0, 2.0, -v2
	v_pack_b32_f16 v2, v3, v2
	v_sub_f16_e32 v3, v23, v11
	v_fmac_f16_e32 v12, v56, v13
	v_lshrrev_b32_e32 v13, 16, v14
	v_pack_b32_f16 v0, v4, v0
	v_lshrrev_b32_e32 v4, 16, v23
	v_fma_f16 v5, v23, 2.0, -v3
	ds_store_b32 v87, v0 offset:7680
	ds_store_b32 v87, v2 offset:9600
	v_sub_f16_e32 v6, v4, v9
	v_lshrrev_b32_e32 v2, 16, v24
	v_mul_f16_e32 v17, v102, v13
	v_fma_f16 v13, v60, v13, -v16
	s_delay_alu instid0(VALU_DEP_4)
	v_fma_f16 v4, v4, 2.0, -v6
	v_pack_b32_f16 v0, v3, v6
	v_sub_f16_e32 v3, v2, v10
	v_fmac_f16_e32 v17, v60, v14
	v_lshrrev_b32_e32 v14, 16, v15
	v_pack_b32_f16 v4, v5, v4
	v_sub_f16_e32 v5, v24, v12
	v_fma_f16 v2, v2, 2.0, -v3
	ds_store_b32 v89, v4 offset:7680
	ds_store_b32 v89, v0 offset:9600
	v_fma_f16 v6, v24, 2.0, -v5
	v_pack_b32_f16 v0, v5, v3
	v_mul_f16_e32 v16, v108, v14
	v_fma_f16 v14, v59, v14, -v20
	v_mul_f16_e32 v20, v104, v18
	v_pack_b32_f16 v2, v6, v2
	ds_store_b32 v88, v2 offset:7680
	ds_store_b32 v88, v0 offset:9600
	v_lshrrev_b32_e32 v2, 16, v25
	v_sub_f16_e32 v0, v25, v17
	v_fmac_f16_e32 v16, v59, v15
	v_lshrrev_b32_e32 v15, 16, v18
	s_delay_alu instid0(VALU_DEP_4) | instskip(NEXT) | instid1(VALU_DEP_4)
	v_sub_f16_e32 v4, v2, v13
	v_fma_f16 v3, v25, 2.0, -v0
	s_delay_alu instid0(VALU_DEP_3) | instskip(SKIP_1) | instid1(VALU_DEP_4)
	v_mul_f16_e32 v28, v104, v15
	v_fma_f16 v15, v61, v15, -v20
	v_fma_f16 v2, v2, 2.0, -v4
	v_pack_b32_f16 v0, v0, v4
	s_delay_alu instid0(VALU_DEP_4) | instskip(SKIP_1) | instid1(VALU_DEP_4)
	v_fmac_f16_e32 v28, v61, v18
	v_lshrrev_b32_e32 v18, 16, v19
	v_pack_b32_f16 v2, v3, v2
	ds_store_b32 v107, v2
	ds_store_b32 v107, v0 offset:1920
	v_lshrrev_b32_e32 v0, 16, v26
	v_sub_f16_e32 v3, v26, v16
	v_mul_f16_e32 v20, v106, v18
	v_fma_f16 v18, v62, v18, -v29
	s_delay_alu instid0(VALU_DEP_4) | instskip(NEXT) | instid1(VALU_DEP_4)
	v_sub_f16_e32 v2, v0, v14
	v_fma_f16 v4, v26, 2.0, -v3
	s_delay_alu instid0(VALU_DEP_4) | instskip(NEXT) | instid1(VALU_DEP_3)
	v_fmac_f16_e32 v20, v62, v19
	v_fma_f16 v0, v0, 2.0, -v2
	v_pack_b32_f16 v2, v3, v2
	v_sub_f16_e32 v3, v27, v28
	s_delay_alu instid0(VALU_DEP_3) | instskip(SKIP_1) | instid1(VALU_DEP_3)
	v_pack_b32_f16 v0, v4, v0
	v_lshrrev_b32_e32 v4, 16, v27
	v_fma_f16 v5, v27, 2.0, -v3
	ds_store_b32 v90, v0 offset:11520
	ds_store_b32 v90, v2 offset:13440
	v_sub_f16_e32 v6, v4, v15
	v_sub_f16_e32 v2, v1, v20
	s_delay_alu instid0(VALU_DEP_2) | instskip(SKIP_2) | instid1(VALU_DEP_4)
	v_fma_f16 v4, v4, 2.0, -v6
	v_pack_b32_f16 v0, v3, v6
	v_lshrrev_b32_e32 v3, 16, v1
	v_fma_f16 v1, v1, 2.0, -v2
	s_delay_alu instid0(VALU_DEP_4) | instskip(SKIP_3) | instid1(VALU_DEP_1)
	v_pack_b32_f16 v4, v5, v4
	ds_store_b32 v91, v4 offset:11520
	ds_store_b32 v91, v0 offset:13440
	v_sub_f16_e32 v5, v3, v18
	v_fma_f16 v3, v3, 2.0, -v5
	v_pack_b32_f16 v0, v2, v5
	s_delay_alu instid0(VALU_DEP_2)
	v_pack_b32_f16 v1, v1, v3
	ds_store_b32 v92, v1 offset:11520
	ds_store_b32 v92, v0 offset:13440
	s_waitcnt lgkmcnt(0)
	s_barrier
	buffer_gl0_inv
	ds_load_2addr_stride64_b32 v[0:1], v58 offset0:32 offset1:34
	s_waitcnt lgkmcnt(0)
	v_lshrrev_b32_e32 v2, 16, v0
	v_mul_f16_e32 v3, v99, v0
	s_delay_alu instid0(VALU_DEP_2) | instskip(NEXT) | instid1(VALU_DEP_2)
	v_mul_f16_e32 v4, v99, v2
	v_fma_f16 v5, v43, v2, -v3
	v_mul_f16_e32 v2, v97, v1
	s_delay_alu instid0(VALU_DEP_3) | instskip(SKIP_1) | instid1(VALU_DEP_1)
	v_fmac_f16_e32 v4, v43, v0
	v_lshrrev_b32_e32 v0, 16, v1
	v_mul_f16_e32 v22, v97, v0
	s_delay_alu instid0(VALU_DEP_4) | instskip(NEXT) | instid1(VALU_DEP_2)
	v_fma_f16 v23, v42, v0, -v2
	v_fmac_f16_e32 v22, v42, v1
	ds_load_2addr_stride64_b32 v[0:1], v58 offset0:36 offset1:38
	s_waitcnt lgkmcnt(0)
	v_lshrrev_b32_e32 v2, 16, v0
	v_mul_f16_e32 v3, v98, v0
	s_delay_alu instid0(VALU_DEP_2) | instskip(NEXT) | instid1(VALU_DEP_2)
	v_mul_f16_e32 v24, v98, v2
	v_fma_f16 v25, v44, v2, -v3
	v_mul_f16_e32 v2, v96, v1
	s_delay_alu instid0(VALU_DEP_3) | instskip(SKIP_1) | instid1(VALU_DEP_1)
	v_fmac_f16_e32 v24, v44, v0
	v_lshrrev_b32_e32 v0, 16, v1
	v_mul_f16_e32 v26, v96, v0
	s_delay_alu instid0(VALU_DEP_4) | instskip(NEXT) | instid1(VALU_DEP_2)
	v_fma_f16 v27, v45, v0, -v2
	v_fmac_f16_e32 v26, v45, v1
	;; [unrolled: 15-line block ×3, first 2 shown]
	ds_load_2addr_stride64_b32 v[1:2], v58 offset0:28 offset1:30
	s_waitcnt lgkmcnt(0)
	v_lshrrev_b32_e32 v3, 16, v2
	v_mul_f16_e32 v6, v101, v2
	s_delay_alu instid0(VALU_DEP_2) | instskip(NEXT) | instid1(VALU_DEP_2)
	v_mul_f16_e32 v7, v101, v3
	v_fma_f16 v6, v49, v3, -v6
	s_delay_alu instid0(VALU_DEP_2)
	v_fmac_f16_e32 v7, v49, v2
	ds_load_2addr_stride64_b32 v[2:3], v58 offset1:2
	s_waitcnt lgkmcnt(0)
	v_sub_f16_e32 v32, v3, v4
	v_lshrrev_b32_e32 v4, 16, v2
	v_sub_f16_e32 v31, v2, v7
	v_lshrrev_b32_e32 v7, 16, v3
	s_delay_alu instid0(VALU_DEP_4) | instskip(NEXT) | instid1(VALU_DEP_4)
	v_fma_f16 v3, v3, 2.0, -v32
	v_sub_f16_e32 v33, v4, v6
	s_delay_alu instid0(VALU_DEP_4) | instskip(NEXT) | instid1(VALU_DEP_4)
	v_fma_f16 v2, v2, 2.0, -v31
	v_sub_f16_e32 v35, v7, v5
	s_delay_alu instid0(VALU_DEP_3) | instskip(NEXT) | instid1(VALU_DEP_2)
	v_fma_f16 v4, v4, 2.0, -v33
	v_pack_b32_f16 v32, v32, v35
	s_delay_alu instid0(VALU_DEP_2) | instskip(SKIP_1) | instid1(VALU_DEP_1)
	v_pack_b32_f16 v34, v2, v4
	v_fma_f16 v2, v7, 2.0, -v35
	v_pack_b32_f16 v36, v3, v2
	ds_load_2addr_stride64_b32 v[16:17], v58 offset0:4 offset1:6
	ds_load_2addr_stride64_b32 v[18:19], v58 offset0:8 offset1:10
	;; [unrolled: 1-line block ×10, first 2 shown]
	s_waitcnt lgkmcnt(0)
	s_barrier
	buffer_gl0_inv
	ds_store_2addr_stride64_b32 v58, v34, v36 offset1:2
	v_lshrrev_b32_e32 v36, 16, v180
	v_lshrrev_b32_e32 v34, 16, v16
	v_sub_f16_e32 v22, v16, v22
	v_sub_f16_e32 v24, v17, v24
	s_delay_alu instid0(VALU_DEP_3) | instskip(NEXT) | instid1(VALU_DEP_3)
	v_sub_f16_e32 v23, v34, v23
	v_fma_f16 v16, v16, 2.0, -v22
	s_delay_alu instid0(VALU_DEP_2)
	v_pack_b32_f16 v35, v22, v23
	v_fma_f16 v23, v34, 2.0, -v23
	v_lshrrev_b32_e32 v22, 16, v17
	v_fma_f16 v17, v17, 2.0, -v24
	ds_store_2addr_stride64_b32 v58, v32, v35 offset0:17 offset1:19
	v_pack_b32_f16 v16, v16, v23
	v_sub_f16_e32 v23, v22, v25
	v_lshrrev_b32_e32 v25, 16, v155
	s_delay_alu instid0(VALU_DEP_2) | instskip(NEXT) | instid1(VALU_DEP_1)
	v_fma_f16 v22, v22, 2.0, -v23
	v_pack_b32_f16 v17, v17, v22
	v_lshrrev_b32_e32 v22, 16, v18
	ds_store_2addr_stride64_b32 v58, v16, v17 offset0:4 offset1:6
	v_pack_b32_f16 v16, v24, v23
	v_sub_f16_e32 v17, v18, v26
	v_sub_f16_e32 v23, v22, v27
	v_lshrrev_b32_e32 v26, 16, v153
	s_delay_alu instid0(VALU_DEP_2)
	v_pack_b32_f16 v24, v17, v23
	v_fma_f16 v17, v18, 2.0, -v17
	v_lshrrev_b32_e32 v18, 16, v19
	ds_store_2addr_stride64_b32 v58, v16, v24 offset0:21 offset1:23
	v_fma_f16 v16, v22, 2.0, -v23
	v_sub_f16_e32 v22, v19, v28
	v_lshrrev_b32_e32 v23, 16, v149
	v_lshrrev_b32_e32 v24, 16, v159
	s_delay_alu instid0(VALU_DEP_4) | instskip(SKIP_2) | instid1(VALU_DEP_2)
	v_pack_b32_f16 v16, v17, v16
	v_sub_f16_e32 v17, v18, v29
	v_fma_f16 v19, v19, 2.0, -v22
	v_fma_f16 v18, v18, 2.0, -v17
	s_delay_alu instid0(VALU_DEP_1)
	v_pack_b32_f16 v18, v19, v18
	v_sub_f16_e32 v19, v20, v30
	ds_store_2addr_stride64_b32 v58, v16, v18 offset0:8 offset1:10
	v_lshrrev_b32_e32 v18, 16, v20
	v_fma_f16 v20, v20, 2.0, -v19
	v_pack_b32_f16 v16, v31, v33
	s_delay_alu instid0(VALU_DEP_3) | instskip(NEXT) | instid1(VALU_DEP_1)
	v_sub_f16_e32 v0, v18, v0
	v_fma_f16 v18, v18, 2.0, -v0
	v_pack_b32_f16 v0, v19, v0
	s_delay_alu instid0(VALU_DEP_2)
	v_pack_b32_f16 v18, v20, v18
	ds_store_2addr_stride64_b32 v58, v18, v16 offset0:12 offset1:15
	v_pack_b32_f16 v16, v22, v17
	v_lshrrev_b32_e32 v22, 16, v150
	ds_store_2addr_stride64_b32 v58, v16, v0 offset0:25 offset1:27
	v_lshrrev_b32_e32 v0, 16, v14
	v_mul_f16_e32 v16, v117, v14
	s_delay_alu instid0(VALU_DEP_2) | instskip(NEXT) | instid1(VALU_DEP_2)
	v_mul_f16_e32 v17, v117, v0
	v_fma_f16 v0, v51, v0, -v16
	v_lshrrev_b32_e32 v16, 16, v21
	s_delay_alu instid0(VALU_DEP_3) | instskip(NEXT) | instid1(VALU_DEP_2)
	v_fmac_f16_e32 v17, v51, v14
	v_sub_f16_e32 v0, v16, v0
	s_delay_alu instid0(VALU_DEP_2) | instskip(NEXT) | instid1(VALU_DEP_2)
	v_sub_f16_e32 v14, v21, v17
	v_fma_f16 v16, v16, 2.0, -v0
	s_delay_alu instid0(VALU_DEP_2)
	v_fma_f16 v17, v21, 2.0, -v14
	v_pack_b32_f16 v0, v14, v0
	scratch_load_b32 v14, off, off offset:356 ; 4-byte Folded Reload
	v_lshrrev_b32_e32 v21, 16, v151
	v_pack_b32_f16 v16, v17, v16
	s_waitcnt vmcnt(0)
	ds_store_2addr_stride64_b32 v14, v16, v0 offset1:15
	scratch_load_b64 v[16:17], off, off offset:176 ; 8-byte Folded Reload
	s_waitcnt vmcnt(0)
	v_mov_b32_e32 v14, v16
	s_delay_alu instid0(VALU_DEP_1) | instskip(SKIP_1) | instid1(VALU_DEP_1)
	v_mad_u64_u32 v[16:17], null, s10, v14, 0
	s_mul_hi_u32 s10, s8, 0x600
	v_mov_b32_e32 v0, v17
	s_delay_alu instid0(VALU_DEP_1) | instskip(SKIP_2) | instid1(VALU_DEP_1)
	v_mad_u64_u32 v[17:18], null, s11, v14, v[0:1]
	v_mad_u64_u32 v[18:19], null, s8, v241, 0
	s_mul_i32 s11, s8, 0x600
	v_mov_b32_e32 v0, v19
	s_delay_alu instid0(VALU_DEP_1) | instskip(SKIP_2) | instid1(VALU_DEP_1)
	v_mad_u64_u32 v[19:20], null, s9, v241, v[0:1]
	v_lshrrev_b32_e32 v0, 16, v15
	v_lshrrev_b32_e32 v20, 16, v152
	v_mul_f16_e32 v14, v20, v0
	v_mul_f16_e32 v20, v20, v15
	s_delay_alu instid0(VALU_DEP_2) | instskip(SKIP_1) | instid1(VALU_DEP_3)
	v_fmac_f16_e64 v14, v152, v15
	v_lshrrev_b32_e32 v15, 16, v12
	v_fma_f16 v0, v152, v0, -v20
	v_mul_f16_e32 v20, v21, v12
	s_delay_alu instid0(VALU_DEP_3) | instskip(NEXT) | instid1(VALU_DEP_2)
	v_mul_f16_e32 v21, v21, v15
	v_fma_f16 v15, v151, v15, -v20
	s_delay_alu instid0(VALU_DEP_2) | instskip(SKIP_1) | instid1(VALU_DEP_1)
	v_fmac_f16_e64 v21, v151, v12
	v_lshrrev_b32_e32 v12, 16, v13
	v_mul_f16_e32 v20, v22, v12
	v_mul_f16_e32 v22, v22, v13
	s_delay_alu instid0(VALU_DEP_2) | instskip(SKIP_1) | instid1(VALU_DEP_3)
	v_fmac_f16_e64 v20, v150, v13
	v_lshrrev_b32_e32 v13, 16, v10
	v_fma_f16 v12, v150, v12, -v22
	v_mul_f16_e32 v22, v23, v10
	s_delay_alu instid0(VALU_DEP_3) | instskip(NEXT) | instid1(VALU_DEP_2)
	v_mul_f16_e32 v23, v23, v13
	v_fma_f16 v13, v149, v13, -v22
	s_delay_alu instid0(VALU_DEP_2) | instskip(SKIP_1) | instid1(VALU_DEP_1)
	v_fmac_f16_e64 v23, v149, v10
	;; [unrolled: 13-line block ×3, first 2 shown]
	v_lshrrev_b32_e32 v8, 16, v9
	v_mul_f16_e32 v24, v26, v8
	v_mul_f16_e32 v26, v26, v9
	s_delay_alu instid0(VALU_DEP_2)
	v_fmac_f16_e64 v24, v153, v9
	v_sub_f16_e32 v9, v6, v14
	v_sub_f16_e32 v14, v7, v21
	v_lshrrev_b32_e32 v21, 16, v6
	v_fma_f16 v8, v153, v8, -v26
	v_lshrrev_b32_e32 v26, 16, v7
	v_fma_f16 v6, v6, 2.0, -v9
	v_fma_f16 v7, v7, 2.0, -v14
	v_sub_f16_e32 v0, v21, v0
	s_delay_alu instid0(VALU_DEP_4) | instskip(NEXT) | instid1(VALU_DEP_2)
	v_sub_f16_e32 v15, v26, v15
	v_fma_f16 v21, v21, 2.0, -v0
	v_pack_b32_f16 v0, v9, v0
	s_delay_alu instid0(VALU_DEP_2) | instskip(NEXT) | instid1(VALU_DEP_4)
	v_pack_b32_f16 v6, v6, v21
	v_fma_f16 v21, v26, 2.0, -v15
	s_delay_alu instid0(VALU_DEP_1) | instskip(SKIP_4) | instid1(VALU_DEP_2)
	v_pack_b32_f16 v7, v7, v21
	ds_store_2addr_stride64_b32 v58, v6, v7 offset0:31 offset1:33
	v_pack_b32_f16 v6, v14, v15
	v_lshrrev_b32_e32 v14, 16, v4
	v_sub_f16_e32 v7, v4, v20
	v_sub_f16_e32 v12, v14, v12
	s_delay_alu instid0(VALU_DEP_2) | instskip(NEXT) | instid1(VALU_DEP_2)
	v_fma_f16 v4, v4, 2.0, -v7
	v_pack_b32_f16 v15, v7, v12
	v_lshrrev_b32_e32 v7, 16, v5
	ds_store_2addr_stride64_b32 v58, v6, v15 offset0:48 offset1:50
	v_fma_f16 v6, v14, 2.0, -v12
	v_sub_f16_e32 v12, v5, v23
	s_delay_alu instid0(VALU_DEP_2) | instskip(SKIP_1) | instid1(VALU_DEP_3)
	v_pack_b32_f16 v4, v4, v6
	v_sub_f16_e32 v6, v7, v13
	v_fma_f16 v5, v5, 2.0, -v12
	s_delay_alu instid0(VALU_DEP_2) | instskip(NEXT) | instid1(VALU_DEP_1)
	v_fma_f16 v7, v7, 2.0, -v6
	v_pack_b32_f16 v5, v5, v7
	ds_store_2addr_stride64_b32 v58, v4, v5 offset0:35 offset1:37
	v_pack_b32_f16 v4, v12, v6
	v_lshrrev_b32_e32 v6, 16, v2
	v_sub_f16_e32 v5, v2, v22
	s_delay_alu instid0(VALU_DEP_2) | instskip(NEXT) | instid1(VALU_DEP_2)
	v_sub_f16_e32 v7, v6, v10
	v_fma_f16 v2, v2, 2.0, -v5
	s_delay_alu instid0(VALU_DEP_2) | instskip(SKIP_4) | instid1(VALU_DEP_2)
	v_pack_b32_f16 v10, v5, v7
	v_lshrrev_b32_e32 v5, 16, v3
	ds_store_2addr_stride64_b32 v58, v4, v10 offset0:52 offset1:54
	v_fma_f16 v4, v6, 2.0, -v7
	v_sub_f16_e32 v6, v3, v25
	v_pack_b32_f16 v2, v2, v4
	v_sub_f16_e32 v4, v5, v11
	s_delay_alu instid0(VALU_DEP_3) | instskip(NEXT) | instid1(VALU_DEP_2)
	v_fma_f16 v3, v3, 2.0, -v6
	v_fma_f16 v5, v5, 2.0, -v4
	s_delay_alu instid0(VALU_DEP_1) | instskip(SKIP_3) | instid1(VALU_DEP_2)
	v_pack_b32_f16 v3, v3, v5
	ds_store_2addr_stride64_b32 v58, v2, v3 offset0:39 offset1:41
	v_lshrrev_b32_e32 v3, 16, v1
	v_sub_f16_e32 v2, v1, v24
	v_sub_f16_e32 v5, v3, v8
	s_delay_alu instid0(VALU_DEP_2) | instskip(NEXT) | instid1(VALU_DEP_2)
	v_fma_f16 v1, v1, 2.0, -v2
	v_fma_f16 v3, v3, 2.0, -v5
	s_delay_alu instid0(VALU_DEP_1)
	v_pack_b32_f16 v1, v1, v3
	ds_store_2addr_stride64_b32 v58, v1, v0 offset0:43 offset1:46
	v_pack_b32_f16 v0, v6, v4
	v_pack_b32_f16 v1, v2, v5
	ds_store_2addr_stride64_b32 v58, v0, v1 offset0:56 offset1:58
	s_waitcnt lgkmcnt(0)
	s_barrier
	buffer_gl0_inv
	ds_load_2addr_stride64_b32 v[0:1], v58 offset0:32 offset1:34
	s_waitcnt lgkmcnt(0)
	v_lshrrev_b32_e32 v2, 16, v0
	v_mul_f16_e64 v3, v251, v0
	s_delay_alu instid0(VALU_DEP_2) | instskip(NEXT) | instid1(VALU_DEP_2)
	v_mul_f16_e64 v4, v251, v2
	v_fma_f16 v3, v210, v2, -v3
	v_mul_f16_e64 v2, v194, v1
	s_delay_alu instid0(VALU_DEP_3) | instskip(SKIP_1) | instid1(VALU_DEP_1)
	v_fmac_f16_e64 v4, v210, v0
	v_lshrrev_b32_e32 v0, 16, v1
	v_mul_f16_e64 v5, v194, v0
	s_delay_alu instid0(VALU_DEP_4) | instskip(NEXT) | instid1(VALU_DEP_2)
	v_fma_f16 v6, v226, v0, -v2
	v_fmac_f16_e64 v5, v226, v1
	ds_load_2addr_stride64_b32 v[0:1], v58 offset0:36 offset1:38
	s_waitcnt lgkmcnt(0)
	v_lshrrev_b32_e32 v2, 16, v0
	v_mul_f16_e64 v7, v192, v0
	s_delay_alu instid0(VALU_DEP_2) | instskip(NEXT) | instid1(VALU_DEP_2)
	v_mul_f16_e64 v8, v192, v2
	v_fma_f16 v7, v227, v2, -v7
	v_mul_f16_e64 v2, v190, v1
	s_delay_alu instid0(VALU_DEP_3) | instskip(SKIP_1) | instid1(VALU_DEP_1)
	v_fmac_f16_e64 v8, v227, v0
	v_lshrrev_b32_e32 v0, 16, v1
	v_mul_f16_e64 v9, v190, v0
	s_delay_alu instid0(VALU_DEP_4) | instskip(NEXT) | instid1(VALU_DEP_2)
	v_fma_f16 v10, v229, v0, -v2
	v_fmac_f16_e64 v9, v229, v1
	;; [unrolled: 15-line block ×3, first 2 shown]
	ds_load_2addr_stride64_b32 v[0:1], v58 offset0:44 offset1:46
	s_waitcnt lgkmcnt(0)
	v_lshrrev_b32_e32 v2, 16, v0
	v_mul_f16_e64 v15, v185, v0
	s_delay_alu instid0(VALU_DEP_2) | instskip(NEXT) | instid1(VALU_DEP_2)
	v_mul_f16_e64 v20, v185, v2
	v_fma_f16 v15, v236, v2, -v15
	v_mul_f16_e64 v2, v184, v1
	s_delay_alu instid0(VALU_DEP_3) | instskip(SKIP_1) | instid1(VALU_DEP_1)
	v_fmac_f16_e64 v20, v236, v0
	v_lshrrev_b32_e32 v0, 16, v1
	v_mul_f16_e64 v21, v184, v0
	s_delay_alu instid0(VALU_DEP_4) | instskip(NEXT) | instid1(VALU_DEP_2)
	v_fma_f16 v22, v86, v0, -v2
	v_fmac_f16_e32 v21, v86, v1
	ds_load_2addr_stride64_b32 v[0:1], v58 offset0:48 offset1:50
	s_waitcnt lgkmcnt(0)
	v_lshrrev_b32_e32 v2, 16, v0
	v_mul_f16_e64 v23, v179, v0
	s_delay_alu instid0(VALU_DEP_2) | instskip(NEXT) | instid1(VALU_DEP_2)
	v_mul_f16_e64 v24, v179, v2
	v_fma_f16 v23, v85, v2, -v23
	v_mul_f16_e64 v2, v178, v1
	s_delay_alu instid0(VALU_DEP_3) | instskip(SKIP_1) | instid1(VALU_DEP_1)
	v_fmac_f16_e32 v24, v85, v0
	v_lshrrev_b32_e32 v0, 16, v1
	v_mul_f16_e64 v25, v178, v0
	s_delay_alu instid0(VALU_DEP_4) | instskip(NEXT) | instid1(VALU_DEP_2)
	v_fma_f16 v26, v84, v0, -v2
	v_fmac_f16_e32 v25, v84, v1
	ds_load_2addr_stride64_b32 v[0:1], v58 offset0:52 offset1:54
	s_waitcnt lgkmcnt(0)
	v_lshrrev_b32_e32 v2, 16, v0
	v_mul_f16_e64 v27, v177, v0
	s_delay_alu instid0(VALU_DEP_2) | instskip(NEXT) | instid1(VALU_DEP_2)
	v_mul_f16_e64 v28, v177, v2
	v_fma_f16 v27, v83, v2, -v27
	v_mul_f16_e64 v2, v176, v1
	s_delay_alu instid0(VALU_DEP_3) | instskip(SKIP_1) | instid1(VALU_DEP_1)
	v_fmac_f16_e32 v28, v83, v0
	;; [unrolled: 15-line block ×3, first 2 shown]
	v_lshrrev_b32_e32 v0, 16, v1
	v_mul_f16_e64 v33, v174, v0
	s_delay_alu instid0(VALU_DEP_4) | instskip(NEXT) | instid1(VALU_DEP_2)
	v_fma_f16 v34, v80, v0, -v2
	v_fmac_f16_e32 v33, v80, v1
	ds_load_2addr_stride64_b32 v[0:1], v58 offset0:28 offset1:30
	s_waitcnt lgkmcnt(0)
	v_lshrrev_b32_e32 v2, 16, v1
	v_mul_f16_e32 v35, v36, v1
	s_delay_alu instid0(VALU_DEP_2) | instskip(NEXT) | instid1(VALU_DEP_2)
	v_mul_f16_e32 v36, v36, v2
	v_fma_f16 v35, v180, v2, -v35
	s_delay_alu instid0(VALU_DEP_2)
	v_fmac_f16_e64 v36, v180, v1
	ds_load_2addr_stride64_b32 v[1:2], v58 offset1:2
	s_waitcnt lgkmcnt(0)
	v_lshrrev_b32_e32 v37, 16, v1
	v_sub_f16_e32 v36, v1, v36
	v_lshrrev_b32_e32 v38, 16, v2
	v_sub_f16_e32 v4, v2, v4
	s_delay_alu instid0(VALU_DEP_4) | instskip(NEXT) | instid1(VALU_DEP_4)
	v_sub_f16_e32 v35, v37, v35
	v_fma_f16 v1, v1, 2.0, -v36
	s_delay_alu instid0(VALU_DEP_4) | instskip(NEXT) | instid1(VALU_DEP_4)
	v_sub_f16_e32 v3, v38, v3
	v_fma_f16 v2, v2, 2.0, -v4
	s_delay_alu instid0(VALU_DEP_4) | instskip(NEXT) | instid1(VALU_DEP_1)
	v_fma_f16 v37, v37, 2.0, -v35
	v_pack_b32_f16 v1, v1, v37
	s_delay_alu instid0(VALU_DEP_4) | instskip(SKIP_1) | instid1(VALU_DEP_2)
	v_fma_f16 v37, v38, 2.0, -v3
	v_pack_b32_f16 v3, v4, v3
	v_pack_b32_f16 v2, v2, v37
	ds_store_2addr_stride64_b32 v58, v1, v2 offset1:2
	ds_load_2addr_stride64_b32 v[1:2], v58 offset0:4 offset1:6
	s_waitcnt lgkmcnt(0)
	v_sub_f16_e32 v4, v1, v5
	v_lshrrev_b32_e32 v5, 16, v1
	s_delay_alu instid0(VALU_DEP_2) | instskip(NEXT) | instid1(VALU_DEP_2)
	v_fma_f16 v1, v1, 2.0, -v4
	v_sub_f16_e32 v6, v5, v6
	s_delay_alu instid0(VALU_DEP_1) | instskip(SKIP_4) | instid1(VALU_DEP_2)
	v_pack_b32_f16 v37, v4, v6
	v_lshrrev_b32_e32 v4, 16, v2
	ds_store_2addr_stride64_b32 v58, v3, v37 offset0:32 offset1:34
	v_fma_f16 v3, v5, 2.0, -v6
	v_sub_f16_e32 v5, v2, v8
	v_pack_b32_f16 v1, v1, v3
	v_sub_f16_e32 v3, v4, v7
	s_delay_alu instid0(VALU_DEP_3) | instskip(NEXT) | instid1(VALU_DEP_2)
	v_fma_f16 v2, v2, 2.0, -v5
	v_fma_f16 v4, v4, 2.0, -v3
	v_pack_b32_f16 v3, v5, v3
	s_delay_alu instid0(VALU_DEP_2)
	v_pack_b32_f16 v2, v2, v4
	ds_store_2addr_stride64_b32 v58, v1, v2 offset0:4 offset1:6
	ds_load_2addr_stride64_b32 v[1:2], v58 offset0:8 offset1:10
	s_waitcnt lgkmcnt(0)
	v_lshrrev_b32_e32 v5, 16, v1
	v_sub_f16_e32 v4, v1, v9
	s_delay_alu instid0(VALU_DEP_2) | instskip(NEXT) | instid1(VALU_DEP_2)
	v_sub_f16_e32 v6, v5, v10
	v_fma_f16 v1, v1, 2.0, -v4
	s_delay_alu instid0(VALU_DEP_2) | instskip(SKIP_4) | instid1(VALU_DEP_2)
	v_pack_b32_f16 v7, v4, v6
	v_lshrrev_b32_e32 v4, 16, v2
	ds_store_2addr_stride64_b32 v58, v3, v7 offset0:36 offset1:38
	v_fma_f16 v3, v5, 2.0, -v6
	v_sub_f16_e32 v5, v2, v12
	v_pack_b32_f16 v1, v1, v3
	v_sub_f16_e32 v3, v4, v11
	s_delay_alu instid0(VALU_DEP_3) | instskip(NEXT) | instid1(VALU_DEP_2)
	v_fma_f16 v2, v2, 2.0, -v5
	v_fma_f16 v4, v4, 2.0, -v3
	v_pack_b32_f16 v3, v5, v3
	s_delay_alu instid0(VALU_DEP_2)
	v_pack_b32_f16 v2, v2, v4
	ds_store_2addr_stride64_b32 v58, v1, v2 offset0:8 offset1:10
	ds_load_2addr_stride64_b32 v[1:2], v58 offset0:12 offset1:14
	s_waitcnt lgkmcnt(0)
	v_lshrrev_b32_e32 v5, 16, v1
	v_sub_f16_e32 v4, v1, v13
	s_delay_alu instid0(VALU_DEP_2) | instskip(NEXT) | instid1(VALU_DEP_2)
	v_sub_f16_e32 v6, v5, v14
	v_fma_f16 v1, v1, 2.0, -v4
	s_delay_alu instid0(VALU_DEP_2) | instskip(SKIP_4) | instid1(VALU_DEP_2)
	;; [unrolled: 22-line block ×3, first 2 shown]
	v_pack_b32_f16 v7, v4, v6
	v_lshrrev_b32_e32 v4, 16, v2
	ds_store_2addr_stride64_b32 v58, v3, v7 offset0:44 offset1:46
	v_fma_f16 v3, v5, 2.0, -v6
	v_sub_f16_e32 v5, v2, v24
	v_pack_b32_f16 v1, v1, v3
	v_sub_f16_e32 v3, v4, v23
	s_delay_alu instid0(VALU_DEP_3) | instskip(NEXT) | instid1(VALU_DEP_2)
	v_fma_f16 v2, v2, 2.0, -v5
	v_fma_f16 v4, v4, 2.0, -v3
	v_pack_b32_f16 v3, v5, v3
	s_delay_alu instid0(VALU_DEP_2)
	v_pack_b32_f16 v2, v2, v4
	ds_store_2addr_stride64_b32 v58, v1, v2 offset0:16 offset1:18
	ds_load_2addr_stride64_b32 v[1:2], v58 offset0:20 offset1:22
	s_waitcnt lgkmcnt(0)
	v_lshrrev_b32_e32 v5, 16, v1
	v_sub_f16_e32 v4, v1, v25
	v_lshrrev_b32_e32 v25, 16, v119
	s_delay_alu instid0(VALU_DEP_3) | instskip(NEXT) | instid1(VALU_DEP_3)
	v_sub_f16_e32 v6, v5, v26
	v_fma_f16 v1, v1, 2.0, -v4
	s_delay_alu instid0(VALU_DEP_2)
	v_pack_b32_f16 v7, v4, v6
	v_lshrrev_b32_e32 v4, 16, v2
	ds_store_2addr_stride64_b32 v58, v3, v7 offset0:48 offset1:50
	v_fma_f16 v3, v5, 2.0, -v6
	v_sub_f16_e32 v5, v2, v28
	v_lshrrev_b32_e32 v28, 16, v182
	s_delay_alu instid0(VALU_DEP_3) | instskip(SKIP_1) | instid1(VALU_DEP_4)
	v_pack_b32_f16 v1, v1, v3
	v_sub_f16_e32 v3, v4, v27
	v_fma_f16 v2, v2, 2.0, -v5
	v_lshrrev_b32_e32 v27, 16, v113
	s_delay_alu instid0(VALU_DEP_3) | instskip(SKIP_1) | instid1(VALU_DEP_2)
	v_fma_f16 v4, v4, 2.0, -v3
	v_pack_b32_f16 v3, v5, v3
	v_pack_b32_f16 v2, v2, v4
	ds_store_2addr_stride64_b32 v58, v1, v2 offset0:20 offset1:22
	ds_load_2addr_stride64_b32 v[1:2], v58 offset0:24 offset1:26
	s_waitcnt lgkmcnt(0)
	v_lshrrev_b32_e32 v5, 16, v1
	v_sub_f16_e32 v4, v1, v29
	v_lshrrev_b32_e32 v29, 16, v181
	s_delay_alu instid0(VALU_DEP_3) | instskip(NEXT) | instid1(VALU_DEP_3)
	v_sub_f16_e32 v6, v5, v30
	v_fma_f16 v1, v1, 2.0, -v4
	v_lshrrev_b32_e32 v30, 16, v183
	s_delay_alu instid0(VALU_DEP_3)
	v_pack_b32_f16 v7, v4, v6
	v_lshrrev_b32_e32 v4, 16, v2
	ds_store_2addr_stride64_b32 v58, v3, v7 offset0:52 offset1:54
	v_fma_f16 v3, v5, 2.0, -v6
	v_sub_f16_e32 v5, v2, v32
	v_lshrrev_b32_e32 v32, 16, v233
	s_delay_alu instid0(VALU_DEP_3) | instskip(SKIP_1) | instid1(VALU_DEP_4)
	v_pack_b32_f16 v1, v1, v3
	v_sub_f16_e32 v3, v4, v31
	v_fma_f16 v2, v2, 2.0, -v5
	v_lshrrev_b32_e32 v31, 16, v187
	s_delay_alu instid0(VALU_DEP_3) | instskip(NEXT) | instid1(VALU_DEP_1)
	v_fma_f16 v4, v4, 2.0, -v3
	v_pack_b32_f16 v2, v2, v4
	v_pack_b32_f16 v4, v36, v35
	ds_store_2addr_stride64_b32 v58, v1, v2 offset0:24 offset1:26
	v_lshrrev_b32_e32 v2, 16, v0
	v_sub_f16_e32 v1, v0, v33
	v_lshrrev_b32_e32 v33, 16, v239
	s_delay_alu instid0(VALU_DEP_3) | instskip(NEXT) | instid1(VALU_DEP_3)
	v_sub_f16_e32 v6, v2, v34
	v_fma_f16 v0, v0, 2.0, -v1
	s_delay_alu instid0(VALU_DEP_2) | instskip(SKIP_1) | instid1(VALU_DEP_2)
	v_fma_f16 v2, v2, 2.0, -v6
	v_pack_b32_f16 v1, v1, v6
	v_pack_b32_f16 v0, v0, v2
	ds_store_2addr_stride64_b32 v58, v0, v4 offset0:28 offset1:30
	v_pack_b32_f16 v0, v5, v3
	v_lshlrev_b64 v[3:4], 2, v[16:17]
	v_lshlrev_b64 v[5:6], 2, v[18:19]
	ds_store_2addr_stride64_b32 v58, v0, v1 offset0:56 offset1:58
	s_waitcnt lgkmcnt(0)
	s_barrier
	buffer_gl0_inv
	ds_load_2addr_stride64_b32 v[1:2], v58 offset1:2
	v_add_co_u32 v0, vcc_lo, s0, v3
	v_add_co_ci_u32_e32 v3, vcc_lo, s1, v4, vcc_lo
	ds_load_2addr_stride64_b32 v[8:9], v58 offset0:4 offset1:6
	v_add_co_u32 v15, vcc_lo, v0, v5
	v_add_co_ci_u32_e32 v16, vcc_lo, v3, v6, vcc_lo
	ds_load_2addr_stride64_b32 v[13:14], v58 offset0:12 offset1:14
	s_clause 0x5
	scratch_load_b32 v41, off, off offset:164
	scratch_load_b32 v39, off, off offset:168
	;; [unrolled: 1-line block ×6, first 2 shown]
	s_waitcnt lgkmcnt(2)
	v_lshrrev_b32_e32 v0, 16, v1
	v_mul_f16_e32 v3, v25, v1
	s_waitcnt lgkmcnt(1)
	v_lshrrev_b32_e32 v20, 16, v9
	s_delay_alu instid0(VALU_DEP_2) | instskip(SKIP_3) | instid1(VALU_DEP_3)
	v_fma_f16 v3, v119, v0, -v3
	v_mul_f16_e32 v0, v25, v0
	s_waitcnt lgkmcnt(0)
	v_lshrrev_b32_e32 v12, 16, v13
	v_cvt_f32_f16_e32 v3, v3
	s_delay_alu instid0(VALU_DEP_3) | instskip(NEXT) | instid1(VALU_DEP_2)
	v_fmac_f16_e32 v0, v119, v1
	v_cvt_f64_f32_e32 v[3:4], v3
	s_delay_alu instid0(VALU_DEP_2) | instskip(NEXT) | instid1(VALU_DEP_1)
	v_cvt_f32_f16_e32 v0, v0
	v_cvt_f64_f32_e32 v[0:1], v0
	s_delay_alu instid0(VALU_DEP_3) | instskip(NEXT) | instid1(VALU_DEP_2)
	v_mul_f64 v[5:6], v[3:4], s[6:7]
	v_mul_f64 v[0:1], v[0:1], s[6:7]
	s_delay_alu instid0(VALU_DEP_2) | instskip(SKIP_3) | instid1(VALU_DEP_4)
	v_and_or_b32 v3, 0x1ff, v6, v5
	v_lshrrev_b32_e32 v4, 8, v6
	v_bfe_u32 v10, v6, 20, 11
	v_lshrrev_b32_e32 v6, 16, v6
	v_cmp_ne_u32_e32 vcc_lo, 0, v3
	v_and_or_b32 v0, 0x1ff, v1, v0
	v_cndmask_b32_e64 v3, 0, 1, vcc_lo
	s_delay_alu instid0(VALU_DEP_2) | instskip(NEXT) | instid1(VALU_DEP_2)
	v_cmp_ne_u32_e64 s2, 0, v0
	v_and_or_b32 v7, 0xffe, v4, v3
	v_sub_nc_u32_e32 v3, 0x3f1, v10
	s_delay_alu instid0(VALU_DEP_3) | instskip(NEXT) | instid1(VALU_DEP_3)
	v_cndmask_b32_e64 v0, 0, 1, s2
	v_or_b32_e32 v4, 0x1000, v7
	s_delay_alu instid0(VALU_DEP_3) | instskip(NEXT) | instid1(VALU_DEP_1)
	v_med3_i32 v3, v3, 0, 13
	v_lshrrev_b32_e32 v19, v3, v4
	s_delay_alu instid0(VALU_DEP_1) | instskip(NEXT) | instid1(VALU_DEP_1)
	v_lshlrev_b32_e32 v3, v3, v19
	v_cmp_ne_u32_e64 s1, v3, v4
	v_mul_f16_e32 v3, v27, v9
	s_delay_alu instid0(VALU_DEP_1) | instskip(NEXT) | instid1(VALU_DEP_1)
	v_fma_f16 v3, v113, v20, -v3
	v_cvt_f32_f16_e32 v3, v3
	s_delay_alu instid0(VALU_DEP_1) | instskip(NEXT) | instid1(VALU_DEP_1)
	v_cvt_f64_f32_e32 v[3:4], v3
	v_mul_f64 v[17:18], v[3:4], s[6:7]
	s_delay_alu instid0(VALU_DEP_1) | instskip(SKIP_2) | instid1(VALU_DEP_3)
	v_and_or_b32 v3, 0x1ff, v18, v17
	v_lshrrev_b32_e32 v4, 8, v18
	v_bfe_u32 v21, v18, 20, 11
	v_cmp_ne_u32_e32 vcc_lo, 0, v3
	v_cndmask_b32_e64 v3, 0, 1, vcc_lo
	s_delay_alu instid0(VALU_DEP_1) | instskip(NEXT) | instid1(VALU_DEP_4)
	v_and_or_b32 v17, 0xffe, v4, v3
	v_sub_nc_u32_e32 v3, 0x3f1, v21
	s_delay_alu instid0(VALU_DEP_2) | instskip(NEXT) | instid1(VALU_DEP_2)
	v_or_b32_e32 v4, 0x1000, v17
	v_med3_i32 v3, v3, 0, 13
	s_delay_alu instid0(VALU_DEP_1) | instskip(NEXT) | instid1(VALU_DEP_1)
	v_lshrrev_b32_e32 v22, v3, v4
	v_lshlrev_b32_e32 v3, v3, v22
	s_delay_alu instid0(VALU_DEP_1) | instskip(SKIP_1) | instid1(VALU_DEP_1)
	v_cmp_ne_u32_e64 s0, v3, v4
	v_mul_f16_e32 v3, v28, v13
	v_fma_f16 v3, v182, v12, -v3
	v_mul_f16_e32 v12, v28, v12
	s_delay_alu instid0(VALU_DEP_2) | instskip(NEXT) | instid1(VALU_DEP_2)
	v_cvt_f32_f16_e32 v3, v3
	v_fmac_f16_e64 v12, v182, v13
	s_delay_alu instid0(VALU_DEP_2) | instskip(NEXT) | instid1(VALU_DEP_2)
	v_cvt_f64_f32_e32 v[3:4], v3
	v_cvt_f32_f16_e32 v12, v12
	s_delay_alu instid0(VALU_DEP_1) | instskip(NEXT) | instid1(VALU_DEP_3)
	v_cvt_f64_f32_e32 v[12:13], v12
	v_mul_f64 v[3:4], v[3:4], s[6:7]
	s_delay_alu instid0(VALU_DEP_2) | instskip(NEXT) | instid1(VALU_DEP_2)
	v_mul_f64 v[12:13], v[12:13], s[6:7]
	v_and_or_b32 v3, 0x1ff, v4, v3
	v_lshrrev_b32_e32 v5, 8, v4
	s_delay_alu instid0(VALU_DEP_2) | instskip(NEXT) | instid1(VALU_DEP_4)
	v_cmp_ne_u32_e32 vcc_lo, 0, v3
	v_and_or_b32 v12, 0x1ff, v13, v12
	v_cndmask_b32_e64 v3, 0, 1, vcc_lo
	s_delay_alu instid0(VALU_DEP_1) | instskip(SKIP_2) | instid1(VALU_DEP_3)
	v_and_or_b32 v3, 0xffe, v5, v3
	v_bfe_u32 v5, v4, 20, 11
	v_lshrrev_b32_e32 v4, 16, v4
	v_or_b32_e32 v24, 0x1000, v3
	s_delay_alu instid0(VALU_DEP_3) | instskip(SKIP_1) | instid1(VALU_DEP_2)
	v_sub_nc_u32_e32 v11, 0x3f1, v5
	v_add_nc_u32_e32 v5, 0xfffffc10, v5
	v_med3_i32 v23, v11, 0, 13
	s_delay_alu instid0(VALU_DEP_1) | instskip(NEXT) | instid1(VALU_DEP_1)
	v_lshrrev_b32_e32 v11, v23, v24
	v_lshlrev_b32_e32 v23, v23, v11
	s_delay_alu instid0(VALU_DEP_1) | instskip(SKIP_1) | instid1(VALU_DEP_1)
	v_cmp_ne_u32_e32 vcc_lo, v23, v24
	v_lshrrev_b32_e32 v23, 8, v1
	v_and_or_b32 v0, 0xffe, v23, v0
	v_bfe_u32 v23, v1, 20, 11
	v_lshrrev_b32_e32 v1, 16, v1
	s_delay_alu instid0(VALU_DEP_3) | instskip(NEXT) | instid1(VALU_DEP_3)
	v_or_b32_e32 v25, 0x1000, v0
	v_sub_nc_u32_e32 v24, 0x3f1, v23
	v_add_nc_u32_e32 v23, 0xfffffc10, v23
	s_delay_alu instid0(VALU_DEP_2) | instskip(NEXT) | instid1(VALU_DEP_1)
	v_med3_i32 v24, v24, 0, 13
	v_lshrrev_b32_e32 v26, v24, v25
	s_delay_alu instid0(VALU_DEP_1) | instskip(NEXT) | instid1(VALU_DEP_1)
	v_lshlrev_b32_e32 v24, v24, v26
	v_cmp_ne_u32_e64 s2, v24, v25
	v_lshl_or_b32 v25, v23, 12, v0
	s_delay_alu instid0(VALU_DEP_2) | instskip(SKIP_1) | instid1(VALU_DEP_2)
	v_cndmask_b32_e64 v24, 0, 1, s2
	v_cmp_gt_i32_e64 s2, 1, v23
	v_or_b32_e32 v24, v26, v24
	s_delay_alu instid0(VALU_DEP_1) | instskip(NEXT) | instid1(VALU_DEP_1)
	v_cndmask_b32_e64 v24, v25, v24, s2
	v_and_b32_e32 v25, 7, v24
	s_delay_alu instid0(VALU_DEP_1) | instskip(SKIP_4) | instid1(VALU_DEP_4)
	v_cmp_lt_i32_e64 s2, 5, v25
	v_cmp_eq_u32_e64 s3, 3, v25
	v_cndmask_b32_e64 v25, 0, 1, s1
	v_cmp_ne_u32_e64 s1, 0, v0
	v_add_nc_u32_e32 v0, 0xfffffc10, v10
	s_or_b32 s2, s3, s2
	s_delay_alu instid0(VALU_DEP_3) | instskip(SKIP_1) | instid1(VALU_DEP_3)
	v_or_b32_e32 v19, v19, v25
	v_cmp_ne_u32_e64 s3, 0, v7
	v_lshl_or_b32 v10, v0, 12, v7
	v_cmp_gt_i32_e64 s4, 1, v0
	s_delay_alu instid0(VALU_DEP_1)
	v_cndmask_b32_e64 v10, v10, v19, s4
	v_lshrrev_b32_e32 v19, 2, v24
	v_cndmask_b32_e64 v24, 0, 1, s1
	v_cmp_eq_u32_e64 s1, 0x40f, v23
	v_cmp_gt_i32_e64 s4, 1, v5
	v_lshrrev_b32_e32 v7, 2, v10
	v_add_co_ci_u32_e64 v19, s2, 0, v19, s2
	v_cmp_gt_i32_e64 s2, 31, v23
	v_lshl_or_b32 v24, v24, 9, 0x7c00
	v_and_b32_e32 v23, 7, v10
	v_cndmask_b32_e64 v10, 0, 1, s3
	s_delay_alu instid0(VALU_DEP_4) | instskip(NEXT) | instid1(VALU_DEP_3)
	v_cndmask_b32_e64 v19, 0x7c00, v19, s2
	v_cmp_eq_u32_e64 s2, 3, v23
	s_delay_alu instid0(VALU_DEP_3) | instskip(NEXT) | instid1(VALU_DEP_3)
	v_lshl_or_b32 v10, v10, 9, 0x7c00
	v_cndmask_b32_e64 v19, v19, v24, s1
	v_cmp_lt_i32_e64 s1, 5, v23
	s_delay_alu instid0(VALU_DEP_2) | instskip(NEXT) | instid1(VALU_DEP_2)
	v_and_or_b32 v1, 0x8000, v1, v19
	s_or_b32 s1, s2, s1
	s_delay_alu instid0(SALU_CYCLE_1) | instskip(SKIP_1) | instid1(VALU_DEP_3)
	v_add_co_ci_u32_e64 v7, s1, 0, v7, s1
	v_cmp_gt_i32_e64 s1, 31, v0
	v_and_b32_e32 v1, 0xffff, v1
	s_delay_alu instid0(VALU_DEP_2) | instskip(SKIP_1) | instid1(VALU_DEP_1)
	v_cndmask_b32_e64 v7, 0x7c00, v7, s1
	v_cmp_eq_u32_e64 s1, 0x40f, v0
	v_cndmask_b32_e64 v0, v7, v10, s1
	s_mul_i32 s1, s9, 0x600
	s_delay_alu instid0(SALU_CYCLE_1) | instskip(NEXT) | instid1(VALU_DEP_1)
	s_add_i32 s10, s10, s1
	v_and_or_b32 v0, 0x8000, v6, v0
	v_mul_f16_e32 v6, v27, v20
	s_delay_alu instid0(VALU_DEP_2) | instskip(NEXT) | instid1(VALU_DEP_2)
	v_lshl_or_b32 v0, v0, 16, v1
	v_fmac_f16_e32 v6, v113, v9
	global_store_b32 v[15:16], v0, off
	v_cvt_f32_f16_e32 v6, v6
	v_add_co_u32 v0, s1, v15, s11
	s_delay_alu instid0(VALU_DEP_1) | instskip(NEXT) | instid1(VALU_DEP_3)
	v_add_co_ci_u32_e64 v1, s1, s10, v16, s1
	v_cvt_f64_f32_e32 v[6:7], v6
	s_delay_alu instid0(VALU_DEP_1) | instskip(NEXT) | instid1(VALU_DEP_1)
	v_mul_f64 v[6:7], v[6:7], s[6:7]
	v_and_or_b32 v6, 0x1ff, v7, v6
	v_lshrrev_b32_e32 v9, 8, v7
	s_delay_alu instid0(VALU_DEP_2) | instskip(NEXT) | instid1(VALU_DEP_1)
	v_cmp_ne_u32_e64 s1, 0, v6
	v_cndmask_b32_e64 v6, 0, 1, s1
	s_delay_alu instid0(VALU_DEP_1) | instskip(SKIP_2) | instid1(VALU_DEP_3)
	v_and_or_b32 v6, 0xffe, v9, v6
	v_bfe_u32 v9, v7, 20, 11
	v_lshrrev_b32_e32 v7, 16, v7
	v_or_b32_e32 v15, 0x1000, v6
	s_delay_alu instid0(VALU_DEP_3) | instskip(SKIP_1) | instid1(VALU_DEP_2)
	v_sub_nc_u32_e32 v10, 0x3f1, v9
	v_add_nc_u32_e32 v9, 0xfffffc10, v9
	v_med3_i32 v10, v10, 0, 13
	s_delay_alu instid0(VALU_DEP_1) | instskip(NEXT) | instid1(VALU_DEP_1)
	v_lshrrev_b32_e32 v16, v10, v15
	v_lshlrev_b32_e32 v10, v10, v16
	s_delay_alu instid0(VALU_DEP_1) | instskip(SKIP_1) | instid1(VALU_DEP_2)
	v_cmp_ne_u32_e64 s1, v10, v15
	v_lshl_or_b32 v15, v9, 12, v6
	v_cndmask_b32_e64 v10, 0, 1, s1
	v_cmp_gt_i32_e64 s1, 1, v9
	s_delay_alu instid0(VALU_DEP_2) | instskip(NEXT) | instid1(VALU_DEP_1)
	v_or_b32_e32 v10, v16, v10
	v_cndmask_b32_e64 v10, v15, v10, s1
	s_delay_alu instid0(VALU_DEP_1) | instskip(SKIP_1) | instid1(VALU_DEP_2)
	v_and_b32_e32 v15, 7, v10
	v_lshrrev_b32_e32 v10, 2, v10
	v_cmp_lt_i32_e64 s1, 5, v15
	v_cmp_eq_u32_e64 s2, 3, v15
	v_cndmask_b32_e64 v15, 0, 1, s0
	v_cmp_ne_u32_e64 s0, 0, v6
	v_add_nc_u32_e32 v6, 0xfffffc10, v21
	s_delay_alu instid0(VALU_DEP_4) | instskip(NEXT) | instid1(VALU_DEP_3)
	s_or_b32 s1, s2, s1
	v_or_b32_e32 v15, v22, v15
	v_add_co_ci_u32_e64 v10, s1, 0, v10, s1
	s_delay_alu instid0(VALU_DEP_3) | instskip(SKIP_3) | instid1(VALU_DEP_3)
	v_lshl_or_b32 v16, v6, 12, v17
	v_cmp_gt_i32_e64 s3, 1, v6
	v_cmp_gt_i32_e64 s1, 31, v9
	v_cmp_ne_u32_e64 s2, 0, v17
	v_cndmask_b32_e64 v15, v16, v15, s3
	v_cndmask_b32_e64 v16, 0, 1, s0
	s_delay_alu instid0(VALU_DEP_4) | instskip(SKIP_1) | instid1(VALU_DEP_3)
	v_cndmask_b32_e64 v10, 0x7c00, v10, s1
	v_cmp_eq_u32_e64 s0, 0x40f, v9
	v_lshl_or_b32 v16, v16, 9, 0x7c00
	s_delay_alu instid0(VALU_DEP_1) | instskip(SKIP_1) | instid1(VALU_DEP_2)
	v_cndmask_b32_e64 v9, v10, v16, s0
	v_and_b32_e32 v10, 7, v15
	v_and_or_b32 v7, 0x8000, v7, v9
	s_delay_alu instid0(VALU_DEP_2) | instskip(SKIP_4) | instid1(VALU_DEP_4)
	v_cmp_lt_i32_e64 s0, 5, v10
	v_cmp_eq_u32_e64 s1, 3, v10
	v_lshrrev_b32_e32 v10, 2, v15
	v_cndmask_b32_e64 v15, 0, 1, s2
	v_and_b32_e32 v7, 0xffff, v7
	s_or_b32 s0, s1, s0
	s_delay_alu instid0(VALU_DEP_3) | instid1(SALU_CYCLE_1)
	v_add_co_ci_u32_e64 v10, s0, 0, v10, s0
	v_cmp_gt_i32_e64 s0, 31, v6
	v_lshl_or_b32 v15, v15, 9, 0x7c00
	s_delay_alu instid0(VALU_DEP_2) | instskip(SKIP_1) | instid1(VALU_DEP_1)
	v_cndmask_b32_e64 v10, 0x7c00, v10, s0
	v_cmp_eq_u32_e64 s0, 0x40f, v6
	v_cndmask_b32_e64 v6, v10, v15, s0
	v_lshrrev_b32_e32 v10, 16, v18
	v_add_co_u32 v19, s0, v0, s11
	s_delay_alu instid0(VALU_DEP_1) | instskip(NEXT) | instid1(VALU_DEP_3)
	v_add_co_ci_u32_e64 v20, s0, s10, v1, s0
	v_and_or_b32 v6, 0x8000, v10, v6
	ds_load_2addr_stride64_b32 v[9:10], v58 offset0:24 offset1:26
	v_lshl_or_b32 v6, v6, 16, v7
	global_store_b32 v[0:1], v6, off
	ds_load_2addr_stride64_b32 v[6:7], v58 offset0:16 offset1:18
	s_waitcnt lgkmcnt(0)
	v_lshrrev_b32_e32 v23, 16, v7
	v_mul_f16_e32 v0, v29, v7
	s_delay_alu instid0(VALU_DEP_1) | instskip(NEXT) | instid1(VALU_DEP_1)
	v_fma_f16 v0, v181, v23, -v0
	v_cvt_f32_f16_e32 v0, v0
	s_delay_alu instid0(VALU_DEP_1) | instskip(NEXT) | instid1(VALU_DEP_1)
	v_cvt_f64_f32_e32 v[0:1], v0
	v_mul_f64 v[15:16], v[0:1], s[6:7]
	s_delay_alu instid0(VALU_DEP_1)
	v_and_or_b32 v0, 0x1ff, v16, v15
	v_lshrrev_b32_e32 v1, 8, v16
	v_bfe_u32 v26, v16, 20, 11
	v_lshrrev_b32_e32 v15, 16, v9
	v_lshrrev_b32_e32 v16, 16, v16
	v_cmp_ne_u32_e64 s0, 0, v0
	s_delay_alu instid0(VALU_DEP_1) | instskip(NEXT) | instid1(VALU_DEP_1)
	v_cndmask_b32_e64 v0, 0, 1, s0
	v_and_or_b32 v25, 0xffe, v1, v0
	v_sub_nc_u32_e32 v0, 0x3f1, v26
	s_delay_alu instid0(VALU_DEP_2) | instskip(NEXT) | instid1(VALU_DEP_2)
	v_or_b32_e32 v1, 0x1000, v25
	v_med3_i32 v0, v0, 0, 13
	s_delay_alu instid0(VALU_DEP_1) | instskip(NEXT) | instid1(VALU_DEP_1)
	v_lshrrev_b32_e32 v27, v0, v1
	v_lshlrev_b32_e32 v0, v0, v27
	s_delay_alu instid0(VALU_DEP_1) | instskip(SKIP_1) | instid1(VALU_DEP_1)
	v_cmp_ne_u32_e64 s2, v0, v1
	v_mul_f16_e32 v0, v31, v9
	v_fma_f16 v0, v187, v15, -v0
	s_delay_alu instid0(VALU_DEP_1) | instskip(NEXT) | instid1(VALU_DEP_1)
	v_cvt_f32_f16_e32 v0, v0
	v_cvt_f64_f32_e32 v[0:1], v0
	s_delay_alu instid0(VALU_DEP_1) | instskip(NEXT) | instid1(VALU_DEP_1)
	v_mul_f64 v[0:1], v[0:1], s[6:7]
	v_and_or_b32 v0, 0x1ff, v1, v0
	v_lshrrev_b32_e32 v17, 8, v1
	s_delay_alu instid0(VALU_DEP_2) | instskip(NEXT) | instid1(VALU_DEP_1)
	v_cmp_ne_u32_e64 s0, 0, v0
	v_cndmask_b32_e64 v0, 0, 1, s0
	v_cmp_ne_u32_e64 s0, 0, v12
	s_delay_alu instid0(VALU_DEP_2) | instskip(SKIP_1) | instid1(VALU_DEP_3)
	v_and_or_b32 v0, 0xffe, v17, v0
	v_bfe_u32 v17, v1, 20, 11
	v_cndmask_b32_e64 v12, 0, 1, s0
	v_lshrrev_b32_e32 v1, 16, v1
	s_delay_alu instid0(VALU_DEP_4) | instskip(NEXT) | instid1(VALU_DEP_4)
	v_or_b32_e32 v22, 0x1000, v0
	v_sub_nc_u32_e32 v18, 0x3f1, v17
	s_delay_alu instid0(VALU_DEP_1) | instskip(NEXT) | instid1(VALU_DEP_1)
	v_med3_i32 v21, v18, 0, 13
	v_lshrrev_b32_e32 v18, v21, v22
	s_delay_alu instid0(VALU_DEP_1) | instskip(NEXT) | instid1(VALU_DEP_1)
	v_lshlrev_b32_e32 v21, v21, v18
	v_cmp_ne_u32_e64 s1, v21, v22
	v_lshrrev_b32_e32 v21, 8, v13
	s_delay_alu instid0(VALU_DEP_1) | instskip(SKIP_1) | instid1(VALU_DEP_2)
	v_and_or_b32 v12, 0xffe, v21, v12
	v_bfe_u32 v21, v13, 20, 11
	v_or_b32_e32 v24, 0x1000, v12
	s_delay_alu instid0(VALU_DEP_2) | instskip(SKIP_1) | instid1(VALU_DEP_2)
	v_sub_nc_u32_e32 v22, 0x3f1, v21
	v_add_nc_u32_e32 v21, 0xfffffc10, v21
	v_med3_i32 v22, v22, 0, 13
	s_delay_alu instid0(VALU_DEP_1) | instskip(NEXT) | instid1(VALU_DEP_1)
	v_lshrrev_b32_e32 v28, v22, v24
	v_lshlrev_b32_e32 v22, v22, v28
	s_delay_alu instid0(VALU_DEP_1) | instskip(SKIP_1) | instid1(VALU_DEP_2)
	v_cmp_ne_u32_e64 s0, v22, v24
	v_lshl_or_b32 v24, v21, 12, v12
	v_cndmask_b32_e64 v22, 0, 1, s0
	v_cmp_gt_i32_e64 s0, 1, v21
	s_delay_alu instid0(VALU_DEP_2) | instskip(NEXT) | instid1(VALU_DEP_1)
	v_or_b32_e32 v22, v28, v22
	v_cndmask_b32_e64 v22, v24, v22, s0
	s_delay_alu instid0(VALU_DEP_1) | instskip(NEXT) | instid1(VALU_DEP_1)
	v_and_b32_e32 v24, 7, v22
	v_cmp_lt_i32_e64 s0, 5, v24
	v_cmp_eq_u32_e64 s3, 3, v24
	v_cndmask_b32_e64 v24, 0, 1, vcc_lo
	v_cmp_ne_u32_e32 vcc_lo, 0, v12
	v_lshl_or_b32 v12, v5, 12, v3
	s_delay_alu instid0(VALU_DEP_4) | instskip(NEXT) | instid1(VALU_DEP_3)
	s_or_b32 s0, s3, s0
	v_or_b32_e32 v11, v11, v24
	v_cmp_ne_u32_e64 s3, 0, v3
	v_lshrrev_b32_e32 v3, 16, v13
	s_delay_alu instid0(VALU_DEP_3) | instskip(SKIP_4) | instid1(VALU_DEP_4)
	v_cndmask_b32_e64 v11, v12, v11, s4
	v_lshrrev_b32_e32 v12, 2, v22
	v_cndmask_b32_e64 v22, 0, 1, vcc_lo
	v_cmp_eq_u32_e32 vcc_lo, 0x40f, v21
	v_cndmask_b32_e64 v13, 0, 1, s3
	v_add_co_ci_u32_e64 v12, s0, 0, v12, s0
	v_cmp_gt_i32_e64 s0, 31, v21
	v_lshl_or_b32 v22, v22, 9, 0x7c00
	v_and_b32_e32 v21, 7, v11
	v_lshrrev_b32_e32 v11, 2, v11
	v_lshl_or_b32 v13, v13, 9, 0x7c00
	v_cndmask_b32_e64 v12, 0x7c00, v12, s0
	s_delay_alu instid0(VALU_DEP_4) | instskip(NEXT) | instid1(VALU_DEP_2)
	v_cmp_eq_u32_e64 s0, 3, v21
	v_cndmask_b32_e32 v12, v12, v22, vcc_lo
	v_cmp_lt_i32_e32 vcc_lo, 5, v21
	s_delay_alu instid0(VALU_DEP_2) | instskip(NEXT) | instid1(VALU_DEP_4)
	v_and_or_b32 v3, 0x8000, v3, v12
	s_or_b32 vcc_lo, s0, vcc_lo
	v_add_co_ci_u32_e32 v11, vcc_lo, 0, v11, vcc_lo
	v_cmp_gt_i32_e32 vcc_lo, 31, v5
	s_delay_alu instid0(VALU_DEP_3) | instskip(NEXT) | instid1(VALU_DEP_3)
	v_and_b32_e32 v3, 0xffff, v3
	v_cndmask_b32_e32 v11, 0x7c00, v11, vcc_lo
	v_cmp_eq_u32_e32 vcc_lo, 0x40f, v5
	s_delay_alu instid0(VALU_DEP_2) | instskip(SKIP_2) | instid1(VALU_DEP_3)
	v_cndmask_b32_e32 v5, v11, v13, vcc_lo
	v_add_co_u32 v21, vcc_lo, v19, s11
	v_add_co_ci_u32_e32 v22, vcc_lo, s10, v20, vcc_lo
	v_and_or_b32 v4, 0x8000, v4, v5
	s_delay_alu instid0(VALU_DEP_1)
	v_lshl_or_b32 v3, v4, 16, v3
	ds_load_2addr_stride64_b32 v[4:5], v58 offset0:28 offset1:30
	global_store_b32 v[19:20], v3, off
	s_waitcnt lgkmcnt(0)
	v_lshrrev_b32_e32 v20, 16, v5
	v_mul_f16_e32 v3, v30, v5
	s_delay_alu instid0(VALU_DEP_1) | instskip(SKIP_1) | instid1(VALU_DEP_2)
	v_fma_f16 v3, v183, v20, -v3
	v_mul_f16_e32 v20, v30, v20
	v_cvt_f32_f16_e32 v3, v3
	s_delay_alu instid0(VALU_DEP_2) | instskip(NEXT) | instid1(VALU_DEP_2)
	v_fmac_f16_e64 v20, v183, v5
	v_cvt_f64_f32_e32 v[11:12], v3
	s_delay_alu instid0(VALU_DEP_2) | instskip(NEXT) | instid1(VALU_DEP_2)
	v_cvt_f32_f16_e32 v5, v20
	v_mul_f64 v[11:12], v[11:12], s[6:7]
	s_delay_alu instid0(VALU_DEP_1) | instskip(SKIP_2) | instid1(VALU_DEP_3)
	v_and_or_b32 v3, 0x1ff, v12, v11
	v_lshrrev_b32_e32 v11, 8, v12
	v_bfe_u32 v13, v12, 20, 11
	v_cmp_ne_u32_e32 vcc_lo, 0, v3
	v_cndmask_b32_e64 v3, 0, 1, vcc_lo
	s_delay_alu instid0(VALU_DEP_1) | instskip(NEXT) | instid1(VALU_DEP_4)
	v_and_or_b32 v3, 0xffe, v11, v3
	v_sub_nc_u32_e32 v11, 0x3f1, v13
	s_delay_alu instid0(VALU_DEP_2) | instskip(NEXT) | instid1(VALU_DEP_2)
	v_or_b32_e32 v24, 0x1000, v3
	v_med3_i32 v11, v11, 0, 13
	s_delay_alu instid0(VALU_DEP_1) | instskip(NEXT) | instid1(VALU_DEP_1)
	v_lshrrev_b32_e32 v19, v11, v24
	v_lshlrev_b32_e32 v11, v11, v19
	s_delay_alu instid0(VALU_DEP_1) | instskip(SKIP_1) | instid1(VALU_DEP_1)
	v_cmp_ne_u32_e64 s0, v11, v24
	v_mul_f16_e32 v11, v29, v23
	v_fmac_f16_e64 v11, v181, v7
	s_delay_alu instid0(VALU_DEP_1) | instskip(NEXT) | instid1(VALU_DEP_1)
	v_cvt_f32_f16_e32 v7, v11
	v_cvt_f64_f32_e32 v[23:24], v7
	s_delay_alu instid0(VALU_DEP_1) | instskip(NEXT) | instid1(VALU_DEP_1)
	v_mul_f64 v[23:24], v[23:24], s[6:7]
	v_and_or_b32 v7, 0x1ff, v24, v23
	v_lshrrev_b32_e32 v11, 8, v24
	s_delay_alu instid0(VALU_DEP_2) | instskip(SKIP_1) | instid1(VALU_DEP_1)
	v_cmp_ne_u32_e32 vcc_lo, 0, v7
	v_cndmask_b32_e64 v7, 0, 1, vcc_lo
	v_and_or_b32 v7, 0xffe, v11, v7
	v_bfe_u32 v11, v24, 20, 11
	s_delay_alu instid0(VALU_DEP_2) | instskip(NEXT) | instid1(VALU_DEP_2)
	v_or_b32_e32 v28, 0x1000, v7
	v_sub_nc_u32_e32 v23, 0x3f1, v11
	v_add_nc_u32_e32 v11, 0xfffffc10, v11
	s_delay_alu instid0(VALU_DEP_2) | instskip(NEXT) | instid1(VALU_DEP_1)
	v_med3_i32 v23, v23, 0, 13
	v_lshrrev_b32_e32 v29, v23, v28
	s_delay_alu instid0(VALU_DEP_1) | instskip(NEXT) | instid1(VALU_DEP_1)
	v_lshlrev_b32_e32 v23, v23, v29
	v_cmp_ne_u32_e32 vcc_lo, v23, v28
	v_lshl_or_b32 v28, v11, 12, v7
	v_cndmask_b32_e64 v23, 0, 1, vcc_lo
	v_cmp_gt_i32_e32 vcc_lo, 1, v11
	s_delay_alu instid0(VALU_DEP_2) | instskip(NEXT) | instid1(VALU_DEP_1)
	v_or_b32_e32 v23, v29, v23
	v_cndmask_b32_e32 v23, v28, v23, vcc_lo
	s_delay_alu instid0(VALU_DEP_1) | instskip(SKIP_1) | instid1(VALU_DEP_2)
	v_and_b32_e32 v28, 7, v23
	v_lshrrev_b32_e32 v23, 2, v23
	v_cmp_lt_i32_e32 vcc_lo, 5, v28
	v_cmp_eq_u32_e64 s3, 3, v28
	v_cndmask_b32_e64 v28, 0, 1, s2
	v_cmp_ne_u32_e64 s2, 0, v7
	v_add_nc_u32_e32 v7, 0xfffffc10, v26
	s_delay_alu instid0(VALU_DEP_4) | instskip(NEXT) | instid1(VALU_DEP_3)
	s_or_b32 vcc_lo, s3, vcc_lo
	v_or_b32_e32 v27, v27, v28
	v_add_co_ci_u32_e32 v23, vcc_lo, 0, v23, vcc_lo
	s_delay_alu instid0(VALU_DEP_3) | instskip(SKIP_3) | instid1(VALU_DEP_3)
	v_lshl_or_b32 v26, v7, 12, v25
	v_cmp_gt_i32_e64 s4, 1, v7
	v_cmp_gt_i32_e32 vcc_lo, 31, v11
	v_cmp_ne_u32_e64 s3, 0, v25
	v_cndmask_b32_e64 v26, v26, v27, s4
	v_cndmask_b32_e64 v27, 0, 1, s2
	v_cndmask_b32_e32 v23, 0x7c00, v23, vcc_lo
	v_cmp_eq_u32_e32 vcc_lo, 0x40f, v11
	v_cndmask_b32_e64 v25, 0, 1, s3
	s_delay_alu instid0(VALU_DEP_4) | instskip(NEXT) | instid1(VALU_DEP_2)
	v_lshl_or_b32 v27, v27, 9, 0x7c00
	v_lshl_or_b32 v25, v25, 9, 0x7c00
	s_delay_alu instid0(VALU_DEP_2) | instskip(SKIP_2) | instid1(VALU_DEP_2)
	v_cndmask_b32_e32 v11, v23, v27, vcc_lo
	v_lshrrev_b32_e32 v23, 16, v24
	v_and_b32_e32 v24, 7, v26
	v_and_or_b32 v11, 0x8000, v23, v11
	s_delay_alu instid0(VALU_DEP_2) | instskip(SKIP_2) | instid1(VALU_DEP_4)
	v_cmp_lt_i32_e32 vcc_lo, 5, v24
	v_cmp_eq_u32_e64 s2, 3, v24
	v_lshrrev_b32_e32 v24, 2, v26
	v_and_b32_e32 v11, 0xffff, v11
	s_delay_alu instid0(VALU_DEP_3) | instskip(NEXT) | instid1(VALU_DEP_2)
	s_or_b32 vcc_lo, s2, vcc_lo
	v_add_co_ci_u32_e32 v24, vcc_lo, 0, v24, vcc_lo
	v_cmp_gt_i32_e32 vcc_lo, 31, v7
	s_delay_alu instid0(VALU_DEP_2) | instskip(SKIP_1) | instid1(VALU_DEP_2)
	v_cndmask_b32_e32 v24, 0x7c00, v24, vcc_lo
	v_cmp_eq_u32_e32 vcc_lo, 0x40f, v7
	v_cndmask_b32_e32 v7, v24, v25, vcc_lo
	s_delay_alu instid0(VALU_DEP_1) | instskip(NEXT) | instid1(VALU_DEP_1)
	v_and_or_b32 v7, 0x8000, v16, v7
	v_lshl_or_b32 v7, v7, 16, v11
	global_store_b32 v[21:22], v7, off
	v_mul_f16_e32 v7, v31, v15
	v_add_co_u32 v21, vcc_lo, v21, s11
	v_add_co_ci_u32_e32 v22, vcc_lo, s10, v22, vcc_lo
	s_delay_alu instid0(VALU_DEP_3) | instskip(NEXT) | instid1(VALU_DEP_1)
	v_fmac_f16_e64 v7, v187, v9
	v_cvt_f32_f16_e32 v7, v7
	s_delay_alu instid0(VALU_DEP_1) | instskip(NEXT) | instid1(VALU_DEP_1)
	v_cvt_f64_f32_e32 v[15:16], v7
	v_mul_f64 v[15:16], v[15:16], s[6:7]
	s_delay_alu instid0(VALU_DEP_1) | instskip(SKIP_1) | instid1(VALU_DEP_2)
	v_and_or_b32 v7, 0x1ff, v16, v15
	v_lshrrev_b32_e32 v9, 8, v16
	v_cmp_ne_u32_e32 vcc_lo, 0, v7
	v_cndmask_b32_e64 v7, 0, 1, vcc_lo
	s_delay_alu instid0(VALU_DEP_1) | instskip(SKIP_1) | instid1(VALU_DEP_2)
	v_and_or_b32 v7, 0xffe, v9, v7
	v_bfe_u32 v9, v16, 20, 11
	v_or_b32_e32 v15, 0x1000, v7
	s_delay_alu instid0(VALU_DEP_2) | instskip(SKIP_1) | instid1(VALU_DEP_2)
	v_sub_nc_u32_e32 v11, 0x3f1, v9
	v_add_nc_u32_e32 v9, 0xfffffc10, v9
	v_med3_i32 v11, v11, 0, 13
	s_delay_alu instid0(VALU_DEP_1) | instskip(NEXT) | instid1(VALU_DEP_1)
	v_lshrrev_b32_e32 v23, v11, v15
	v_lshlrev_b32_e32 v11, v11, v23
	s_delay_alu instid0(VALU_DEP_1) | instskip(SKIP_3) | instid1(VALU_DEP_2)
	v_cmp_ne_u32_e32 vcc_lo, v11, v15
	v_lshl_or_b32 v15, v9, 12, v7
	v_cndmask_b32_e64 v11, 0, 1, vcc_lo
	v_cmp_gt_i32_e32 vcc_lo, 1, v9
	v_or_b32_e32 v11, v23, v11
	s_delay_alu instid0(VALU_DEP_1) | instskip(NEXT) | instid1(VALU_DEP_1)
	v_cndmask_b32_e32 v11, v15, v11, vcc_lo
	v_and_b32_e32 v15, 7, v11
	v_lshrrev_b32_e32 v11, 2, v11
	s_delay_alu instid0(VALU_DEP_2) | instskip(SKIP_4) | instid1(VALU_DEP_4)
	v_cmp_lt_i32_e32 vcc_lo, 5, v15
	v_cmp_eq_u32_e64 s2, 3, v15
	v_cndmask_b32_e64 v15, 0, 1, s1
	v_cmp_ne_u32_e64 s1, 0, v7
	v_add_nc_u32_e32 v7, 0xfffffc10, v17
	s_or_b32 vcc_lo, s2, vcc_lo
	s_delay_alu instid0(VALU_DEP_3) | instskip(SKIP_1) | instid1(VALU_DEP_3)
	v_or_b32_e32 v15, v18, v15
	v_add_co_ci_u32_e32 v11, vcc_lo, 0, v11, vcc_lo
	v_lshl_or_b32 v17, v7, 12, v0
	v_cmp_gt_i32_e64 s3, 1, v7
	v_cmp_gt_i32_e32 vcc_lo, 31, v9
	v_cmp_ne_u32_e64 s2, 0, v0
	v_lshrrev_b32_e32 v0, 16, v16
	s_delay_alu instid0(VALU_DEP_4) | instskip(SKIP_3) | instid1(VALU_DEP_3)
	v_cndmask_b32_e64 v15, v17, v15, s3
	v_cndmask_b32_e64 v17, 0, 1, s1
	v_cndmask_b32_e32 v11, 0x7c00, v11, vcc_lo
	v_cmp_eq_u32_e32 vcc_lo, 0x40f, v9
	v_lshl_or_b32 v17, v17, 9, 0x7c00
	s_delay_alu instid0(VALU_DEP_1)
	v_cndmask_b32_e32 v9, v11, v17, vcc_lo
	v_and_b32_e32 v11, 7, v15
	ds_load_2addr_stride64_b32 v[17:18], v58 offset0:36 offset1:38
	v_and_or_b32 v0, 0x8000, v0, v9
	v_cmp_lt_i32_e32 vcc_lo, 5, v11
	v_cmp_eq_u32_e64 s1, 3, v11
	v_lshrrev_b32_e32 v11, 2, v15
	v_cndmask_b32_e64 v15, 0, 1, s2
	v_and_b32_e32 v0, 0xffff, v0
	s_delay_alu instid0(VALU_DEP_4) | instskip(NEXT) | instid1(VALU_DEP_3)
	s_or_b32 vcc_lo, s1, vcc_lo
	v_add_co_ci_u32_e32 v11, vcc_lo, 0, v11, vcc_lo
	v_cmp_gt_i32_e32 vcc_lo, 31, v7
	v_lshl_or_b32 v15, v15, 9, 0x7c00
	s_delay_alu instid0(VALU_DEP_3) | instskip(SKIP_3) | instid1(VALU_DEP_3)
	v_cndmask_b32_e32 v11, 0x7c00, v11, vcc_lo
	v_cmp_eq_u32_e32 vcc_lo, 0x40f, v7
	s_waitcnt lgkmcnt(0)
	v_lshrrev_b32_e32 v9, 16, v17
	v_cndmask_b32_e32 v7, v11, v15, vcc_lo
	s_delay_alu instid0(VALU_DEP_1) | instskip(NEXT) | instid1(VALU_DEP_1)
	v_and_or_b32 v1, 0x8000, v1, v7
	v_lshl_or_b32 v0, v1, 16, v0
	global_store_b32 v[21:22], v0, off
	v_mul_f16_e32 v0, v32, v17
	v_add_co_u32 v21, vcc_lo, v21, s11
	v_add_co_ci_u32_e32 v22, vcc_lo, s10, v22, vcc_lo
	s_delay_alu instid0(VALU_DEP_3) | instskip(NEXT) | instid1(VALU_DEP_1)
	v_fma_f16 v0, v233, v9, -v0
	v_cvt_f32_f16_e32 v0, v0
	s_delay_alu instid0(VALU_DEP_1) | instskip(NEXT) | instid1(VALU_DEP_1)
	v_cvt_f64_f32_e32 v[0:1], v0
	v_mul_f64 v[23:24], v[0:1], s[6:7]
	s_delay_alu instid0(VALU_DEP_1) | instskip(SKIP_2) | instid1(VALU_DEP_3)
	v_and_or_b32 v0, 0x1ff, v24, v23
	v_lshrrev_b32_e32 v1, 8, v24
	v_bfe_u32 v28, v24, 20, 11
	v_cmp_ne_u32_e32 vcc_lo, 0, v0
	v_cndmask_b32_e64 v0, 0, 1, vcc_lo
	s_delay_alu instid0(VALU_DEP_1) | instskip(NEXT) | instid1(VALU_DEP_4)
	v_and_or_b32 v27, 0xffe, v1, v0
	v_sub_nc_u32_e32 v0, 0x3f1, v28
	s_delay_alu instid0(VALU_DEP_2) | instskip(NEXT) | instid1(VALU_DEP_2)
	v_or_b32_e32 v1, 0x1000, v27
	v_med3_i32 v0, v0, 0, 13
	s_delay_alu instid0(VALU_DEP_1) | instskip(NEXT) | instid1(VALU_DEP_1)
	v_lshrrev_b32_e32 v29, v0, v1
	v_lshlrev_b32_e32 v0, v0, v29
	s_delay_alu instid0(VALU_DEP_1) | instskip(SKIP_4) | instid1(VALU_DEP_1)
	v_cmp_ne_u32_e64 s1, v0, v1
	ds_load_2addr_stride64_b32 v[0:1], v58 offset0:40 offset1:42
	s_waitcnt lgkmcnt(0)
	v_lshrrev_b32_e32 v7, 16, v1
	v_mul_f16_e32 v11, v33, v1
	v_fma_f16 v11, v239, v7, -v11
	v_mul_f16_e32 v7, v33, v7
	s_delay_alu instid0(VALU_DEP_2) | instskip(NEXT) | instid1(VALU_DEP_2)
	v_cvt_f32_f16_e32 v11, v11
	v_fmac_f16_e64 v7, v239, v1
	s_delay_alu instid0(VALU_DEP_2) | instskip(NEXT) | instid1(VALU_DEP_2)
	v_cvt_f64_f32_e32 v[15:16], v11
	v_cvt_f32_f16_e32 v1, v7
	s_delay_alu instid0(VALU_DEP_2) | instskip(NEXT) | instid1(VALU_DEP_1)
	v_mul_f64 v[15:16], v[15:16], s[6:7]
	v_and_or_b32 v11, 0x1ff, v16, v15
	v_lshrrev_b32_e32 v15, 8, v16
	s_delay_alu instid0(VALU_DEP_2) | instskip(SKIP_1) | instid1(VALU_DEP_1)
	v_cmp_ne_u32_e32 vcc_lo, 0, v11
	v_cndmask_b32_e64 v11, 0, 1, vcc_lo
	v_and_or_b32 v11, 0xffe, v15, v11
	v_bfe_u32 v15, v16, 20, 11
	s_delay_alu instid0(VALU_DEP_2) | instskip(NEXT) | instid1(VALU_DEP_2)
	v_or_b32_e32 v26, 0x1000, v11
	v_sub_nc_u32_e32 v23, 0x3f1, v15
	v_add_nc_u32_e32 v15, 0xfffffc10, v15
	s_delay_alu instid0(VALU_DEP_2) | instskip(NEXT) | instid1(VALU_DEP_1)
	v_med3_i32 v25, v23, 0, 13
	v_lshrrev_b32_e32 v23, v25, v26
	s_delay_alu instid0(VALU_DEP_1) | instskip(NEXT) | instid1(VALU_DEP_1)
	v_lshlrev_b32_e32 v25, v25, v23
	v_cmp_ne_u32_e32 vcc_lo, v25, v26
	v_cvt_f64_f32_e32 v[25:26], v5
	s_delay_alu instid0(VALU_DEP_1) | instskip(NEXT) | instid1(VALU_DEP_1)
	v_mul_f64 v[25:26], v[25:26], s[6:7]
	v_and_or_b32 v5, 0x1ff, v26, v25
	v_lshrrev_b32_e32 v20, 8, v26
	s_delay_alu instid0(VALU_DEP_2) | instskip(NEXT) | instid1(VALU_DEP_1)
	v_cmp_ne_u32_e64 s2, 0, v5
	v_cndmask_b32_e64 v5, 0, 1, s2
	s_delay_alu instid0(VALU_DEP_1) | instskip(SKIP_1) | instid1(VALU_DEP_2)
	v_and_or_b32 v5, 0xffe, v20, v5
	v_bfe_u32 v20, v26, 20, 11
	v_or_b32_e32 v30, 0x1000, v5
	s_delay_alu instid0(VALU_DEP_2) | instskip(SKIP_1) | instid1(VALU_DEP_2)
	v_sub_nc_u32_e32 v25, 0x3f1, v20
	v_add_nc_u32_e32 v20, 0xfffffc10, v20
	v_med3_i32 v25, v25, 0, 13
	s_delay_alu instid0(VALU_DEP_1) | instskip(NEXT) | instid1(VALU_DEP_1)
	v_lshrrev_b32_e32 v31, v25, v30
	v_lshlrev_b32_e32 v25, v25, v31
	s_delay_alu instid0(VALU_DEP_1) | instskip(SKIP_1) | instid1(VALU_DEP_2)
	v_cmp_ne_u32_e64 s2, v25, v30
	v_lshl_or_b32 v30, v20, 12, v5
	v_cndmask_b32_e64 v25, 0, 1, s2
	v_cmp_gt_i32_e64 s2, 1, v20
	s_delay_alu instid0(VALU_DEP_2) | instskip(NEXT) | instid1(VALU_DEP_1)
	v_or_b32_e32 v25, v31, v25
	v_cndmask_b32_e64 v25, v30, v25, s2
	s_delay_alu instid0(VALU_DEP_1) | instskip(NEXT) | instid1(VALU_DEP_1)
	v_and_b32_e32 v30, 7, v25
	v_cmp_lt_i32_e64 s2, 5, v30
	v_cmp_eq_u32_e64 s3, 3, v30
	v_cndmask_b32_e64 v30, 0, 1, s0
	v_cmp_ne_u32_e64 s0, 0, v5
	v_add_nc_u32_e32 v5, 0xfffffc10, v13
	s_delay_alu instid0(VALU_DEP_4) | instskip(NEXT) | instid1(VALU_DEP_3)
	s_or_b32 s2, s3, s2
	v_or_b32_e32 v19, v19, v30
	v_cmp_ne_u32_e64 s3, 0, v3
	s_delay_alu instid0(VALU_DEP_3) | instskip(SKIP_1) | instid1(VALU_DEP_1)
	v_lshl_or_b32 v13, v5, 12, v3
	v_cmp_gt_i32_e64 s4, 1, v5
	v_cndmask_b32_e64 v13, v13, v19, s4
	v_lshrrev_b32_e32 v19, 2, v25
	v_cndmask_b32_e64 v25, 0, 1, s0
	v_cmp_eq_u32_e64 s0, 0x40f, v20
	s_delay_alu instid0(VALU_DEP_4) | instskip(NEXT) | instid1(VALU_DEP_4)
	v_lshrrev_b32_e32 v3, 2, v13
	v_add_co_ci_u32_e64 v19, s2, 0, v19, s2
	v_cmp_gt_i32_e64 s2, 31, v20
	v_lshl_or_b32 v25, v25, 9, 0x7c00
	v_lshrrev_b32_e32 v20, 16, v26
	s_delay_alu instid0(VALU_DEP_3) | instskip(NEXT) | instid1(VALU_DEP_1)
	v_cndmask_b32_e64 v19, 0x7c00, v19, s2
	v_cndmask_b32_e64 v19, v19, v25, s0
	v_and_b32_e32 v25, 7, v13
	v_cndmask_b32_e64 v13, 0, 1, s3
	s_delay_alu instid0(VALU_DEP_2) | instskip(SKIP_1) | instid1(VALU_DEP_3)
	v_cmp_lt_i32_e64 s0, 5, v25
	v_cmp_eq_u32_e64 s2, 3, v25
	v_lshl_or_b32 v13, v13, 9, 0x7c00
	s_delay_alu instid0(VALU_DEP_2) | instskip(NEXT) | instid1(SALU_CYCLE_1)
	s_or_b32 s0, s2, s0
	v_add_co_ci_u32_e64 v3, s0, 0, v3, s0
	v_cmp_gt_i32_e64 s0, 31, v5
	s_delay_alu instid0(VALU_DEP_1) | instskip(SKIP_3) | instid1(VALU_DEP_3)
	v_cndmask_b32_e64 v3, 0x7c00, v3, s0
	v_cmp_eq_u32_e64 s0, 0x40f, v5
	v_lshrrev_b32_e32 v5, 16, v12
	v_and_or_b32 v12, 0x8000, v20, v19
	v_cndmask_b32_e64 v3, v3, v13, s0
	s_delay_alu instid0(VALU_DEP_1) | instskip(NEXT) | instid1(VALU_DEP_3)
	v_and_or_b32 v3, 0x8000, v5, v3
	v_and_b32_e32 v5, 0xffff, v12
	v_add_co_u32 v12, s0, v21, s11
	s_delay_alu instid0(VALU_DEP_1) | instskip(NEXT) | instid1(VALU_DEP_3)
	v_add_co_ci_u32_e64 v13, s0, s10, v22, s0
	v_lshl_or_b32 v3, v3, 16, v5
	global_store_b32 v[21:22], v3, off
	v_mul_f16_e32 v3, v32, v9
	s_delay_alu instid0(VALU_DEP_1) | instskip(NEXT) | instid1(VALU_DEP_1)
	v_fmac_f16_e64 v3, v233, v17
	v_cvt_f32_f16_e32 v3, v3
	s_delay_alu instid0(VALU_DEP_1) | instskip(NEXT) | instid1(VALU_DEP_1)
	v_cvt_f64_f32_e32 v[19:20], v3
	v_mul_f64 v[19:20], v[19:20], s[6:7]
	s_delay_alu instid0(VALU_DEP_1) | instskip(SKIP_1) | instid1(VALU_DEP_2)
	v_and_or_b32 v3, 0x1ff, v20, v19
	v_lshrrev_b32_e32 v5, 8, v20
	v_cmp_ne_u32_e64 s0, 0, v3
	s_delay_alu instid0(VALU_DEP_1) | instskip(NEXT) | instid1(VALU_DEP_1)
	v_cndmask_b32_e64 v3, 0, 1, s0
	v_and_or_b32 v3, 0xffe, v5, v3
	v_bfe_u32 v5, v20, 20, 11
	s_delay_alu instid0(VALU_DEP_2) | instskip(NEXT) | instid1(VALU_DEP_2)
	v_or_b32_e32 v17, 0x1000, v3
	v_sub_nc_u32_e32 v9, 0x3f1, v5
	v_add_nc_u32_e32 v5, 0xfffffc10, v5
	v_cmp_ne_u32_e64 s2, 0, v3
	s_delay_alu instid0(VALU_DEP_3) | instskip(NEXT) | instid1(VALU_DEP_1)
	v_med3_i32 v9, v9, 0, 13
	v_lshrrev_b32_e32 v19, v9, v17
	s_delay_alu instid0(VALU_DEP_1) | instskip(NEXT) | instid1(VALU_DEP_1)
	v_lshlrev_b32_e32 v9, v9, v19
	v_cmp_ne_u32_e64 s0, v9, v17
	v_lshl_or_b32 v17, v5, 12, v3
	s_delay_alu instid0(VALU_DEP_2) | instskip(SKIP_1) | instid1(VALU_DEP_2)
	v_cndmask_b32_e64 v9, 0, 1, s0
	v_cmp_gt_i32_e64 s0, 1, v5
	v_or_b32_e32 v9, v19, v9
	v_add_nc_u32_e32 v19, 0xfffffc10, v28
	s_delay_alu instid0(VALU_DEP_2) | instskip(SKIP_1) | instid1(VALU_DEP_3)
	v_cndmask_b32_e64 v9, v17, v9, s0
	v_cndmask_b32_e64 v17, 0, 1, s1
	v_lshl_or_b32 v21, v19, 12, v27
	v_cmp_gt_i32_e64 s0, 1, v19
	s_delay_alu instid0(VALU_DEP_3) | instskip(NEXT) | instid1(VALU_DEP_1)
	v_or_b32_e32 v17, v29, v17
	v_cndmask_b32_e64 v17, v21, v17, s0
	v_and_b32_e32 v21, 7, v9
	s_delay_alu instid0(VALU_DEP_2) | instskip(NEXT) | instid1(VALU_DEP_2)
	v_and_b32_e32 v3, 7, v17
	v_cmp_lt_i32_e64 s0, 5, v21
	v_cmp_eq_u32_e64 s1, 3, v21
	s_delay_alu instid0(VALU_DEP_3) | instskip(SKIP_2) | instid1(VALU_DEP_4)
	v_cmp_lt_i32_e64 s3, 5, v3
	v_cmp_eq_u32_e64 s4, 3, v3
	v_lshrrev_b32_e32 v3, 2, v9
	s_or_b32 s0, s1, s0
	v_cndmask_b32_e64 v9, 0, 1, s2
	s_delay_alu instid0(VALU_DEP_3) | instskip(NEXT) | instid1(VALU_DEP_2)
	s_or_b32 s1, s4, s3
	v_add_co_ci_u32_e64 v3, s0, 0, v3, s0
	v_cmp_gt_i32_e64 s0, 31, v5
	s_delay_alu instid0(VALU_DEP_3) | instskip(NEXT) | instid1(VALU_DEP_2)
	v_lshl_or_b32 v9, v9, 9, 0x7c00
	v_cndmask_b32_e64 v3, 0x7c00, v3, s0
	v_cmp_eq_u32_e64 s0, 0x40f, v5
	v_lshrrev_b32_e32 v5, 16, v20
	s_delay_alu instid0(VALU_DEP_2) | instskip(SKIP_2) | instid1(VALU_DEP_3)
	v_cndmask_b32_e64 v3, v3, v9, s0
	v_lshrrev_b32_e32 v9, 2, v17
	v_cmp_ne_u32_e64 s0, 0, v27
	v_and_or_b32 v3, 0x8000, v5, v3
	s_delay_alu instid0(VALU_DEP_3) | instskip(SKIP_1) | instid1(VALU_DEP_4)
	v_add_co_ci_u32_e64 v9, s1, 0, v9, s1
	v_cmp_gt_i32_e64 s1, 31, v19
	v_cndmask_b32_e64 v17, 0, 1, s0
	v_cmp_eq_u32_e64 s0, 0x40f, v19
	v_and_b32_e32 v3, 0xffff, v3
	s_delay_alu instid0(VALU_DEP_4) | instskip(NEXT) | instid1(VALU_DEP_4)
	v_cndmask_b32_e64 v9, 0x7c00, v9, s1
	v_lshl_or_b32 v17, v17, 9, 0x7c00
	s_delay_alu instid0(VALU_DEP_1) | instskip(SKIP_2) | instid1(VALU_DEP_1)
	v_cndmask_b32_e64 v9, v9, v17, s0
	v_lshrrev_b32_e32 v17, 16, v24
	v_add_co_u32 v28, s0, v12, s11
	v_add_co_ci_u32_e64 v29, s0, s10, v13, s0
	s_delay_alu instid0(VALU_DEP_3)
	v_and_or_b32 v5, 0x8000, v17, v9
	scratch_load_b32 v9, off, off offset:152 ; 4-byte Folded Reload
	v_lshl_or_b32 v3, v5, 16, v3
	global_store_b32 v[12:13], v3, off
	ds_load_2addr_stride64_b32 v[12:13], v58 offset0:48 offset1:50
	s_waitcnt lgkmcnt(0)
	v_lshrrev_b32_e32 v34, 16, v12
	s_waitcnt vmcnt(6)
	v_mul_f16_e32 v3, v41, v12
	s_waitcnt vmcnt(4)
	s_delay_alu instid0(VALU_DEP_1) | instskip(NEXT) | instid1(VALU_DEP_1)
	v_fma_f16 v3, v38, v34, -v3
	v_cvt_f32_f16_e32 v3, v3
	s_delay_alu instid0(VALU_DEP_1) | instskip(NEXT) | instid1(VALU_DEP_1)
	v_cvt_f64_f32_e32 v[19:20], v3
	v_mul_f64 v[30:31], v[19:20], s[6:7]
	s_delay_alu instid0(VALU_DEP_1) | instskip(SKIP_2) | instid1(VALU_DEP_3)
	v_and_or_b32 v3, 0x1ff, v31, v30
	v_lshrrev_b32_e32 v5, 8, v31
	v_bfe_u32 v35, v31, 20, 11
	v_cmp_ne_u32_e64 s0, 0, v3
	s_delay_alu instid0(VALU_DEP_1) | instskip(NEXT) | instid1(VALU_DEP_1)
	v_cndmask_b32_e64 v3, 0, 1, s0
	v_and_or_b32 v30, 0xffe, v5, v3
	s_delay_alu instid0(VALU_DEP_4) | instskip(NEXT) | instid1(VALU_DEP_2)
	v_sub_nc_u32_e32 v3, 0x3f1, v35
	v_or_b32_e32 v5, 0x1000, v30
	s_delay_alu instid0(VALU_DEP_2) | instskip(NEXT) | instid1(VALU_DEP_1)
	v_med3_i32 v3, v3, 0, 13
	v_lshrrev_b32_e32 v36, v3, v5
	s_delay_alu instid0(VALU_DEP_1) | instskip(NEXT) | instid1(VALU_DEP_1)
	v_lshlrev_b32_e32 v3, v3, v36
	v_cmp_ne_u32_e64 s3, v3, v5
	scratch_load_b32 v5, off, off offset:156 ; 4-byte Folded Reload
	v_lshrrev_b32_e32 v3, 16, v2
	s_waitcnt vmcnt(0)
	s_delay_alu instid0(VALU_DEP_1) | instskip(SKIP_1) | instid1(VALU_DEP_2)
	v_mul_f16_e32 v17, v5, v3
	v_mul_f16_e32 v5, v5, v2
	v_fmac_f16_e32 v17, v9, v2
	s_delay_alu instid0(VALU_DEP_2)
	v_fma_f16 v24, v9, v3, -v5
	ds_load_2addr_stride64_b32 v[2:3], v58 offset0:52 offset1:54
	v_cvt_f32_f16_e32 v17, v17
	s_waitcnt lgkmcnt(0)
	v_lshrrev_b32_e32 v27, 16, v3
	v_mul_f16_e32 v5, v40, v3
	s_delay_alu instid0(VALU_DEP_1)
	v_fma_f16 v5, v39, v27, -v5
	v_mul_f16_e32 v27, v40, v27
	scratch_load_b32 v40, off, off offset:128 ; 4-byte Folded Reload
	v_cvt_f32_f16_e32 v5, v5
	v_fmac_f16_e32 v27, v39, v3
	scratch_load_b32 v39, off, off offset:124 ; 4-byte Folded Reload
	v_cvt_f64_f32_e32 v[19:20], v5
	v_cvt_f32_f16_e32 v3, v27
	s_delay_alu instid0(VALU_DEP_2) | instskip(NEXT) | instid1(VALU_DEP_1)
	v_mul_f64 v[19:20], v[19:20], s[6:7]
	v_and_or_b32 v5, 0x1ff, v20, v19
	v_lshrrev_b32_e32 v9, 8, v20
	s_delay_alu instid0(VALU_DEP_2) | instskip(NEXT) | instid1(VALU_DEP_1)
	v_cmp_ne_u32_e64 s0, 0, v5
	v_cndmask_b32_e64 v5, 0, 1, s0
	s_delay_alu instid0(VALU_DEP_1) | instskip(SKIP_1) | instid1(VALU_DEP_2)
	v_and_or_b32 v5, 0xffe, v9, v5
	v_bfe_u32 v9, v20, 20, 11
	v_or_b32_e32 v22, 0x1000, v5
	s_delay_alu instid0(VALU_DEP_2) | instskip(SKIP_1) | instid1(VALU_DEP_2)
	v_sub_nc_u32_e32 v19, 0x3f1, v9
	v_add_nc_u32_e32 v9, 0xfffffc10, v9
	v_med3_i32 v21, v19, 0, 13
	s_delay_alu instid0(VALU_DEP_1) | instskip(NEXT) | instid1(VALU_DEP_1)
	v_lshrrev_b32_e32 v19, v21, v22
	v_lshlrev_b32_e32 v21, v21, v19
	s_delay_alu instid0(VALU_DEP_1) | instskip(SKIP_1) | instid1(VALU_DEP_1)
	v_cmp_ne_u32_e64 s0, v21, v22
	v_cvt_f64_f32_e32 v[21:22], v17
	v_mul_f64 v[21:22], v[21:22], s[6:7]
	s_delay_alu instid0(VALU_DEP_1) | instskip(SKIP_2) | instid1(VALU_DEP_3)
	v_and_or_b32 v17, 0x1ff, v22, v21
	v_lshrrev_b32_e32 v21, 8, v22
	v_bfe_u32 v25, v22, 20, 11
	v_cmp_ne_u32_e64 s1, 0, v17
	s_delay_alu instid0(VALU_DEP_1) | instskip(NEXT) | instid1(VALU_DEP_1)
	v_cndmask_b32_e64 v17, 0, 1, s1
	v_and_or_b32 v21, 0xffe, v21, v17
	s_delay_alu instid0(VALU_DEP_4) | instskip(NEXT) | instid1(VALU_DEP_2)
	v_sub_nc_u32_e32 v17, 0x3f1, v25
	v_or_b32_e32 v32, 0x1000, v21
	s_delay_alu instid0(VALU_DEP_2) | instskip(NEXT) | instid1(VALU_DEP_1)
	v_med3_i32 v17, v17, 0, 13
	v_lshrrev_b32_e32 v26, v17, v32
	s_delay_alu instid0(VALU_DEP_1) | instskip(NEXT) | instid1(VALU_DEP_1)
	v_lshlrev_b32_e32 v17, v17, v26
	v_cmp_ne_u32_e64 s1, v17, v32
	v_cvt_f64_f32_e32 v[32:33], v1
	s_delay_alu instid0(VALU_DEP_1) | instskip(NEXT) | instid1(VALU_DEP_1)
	v_mul_f64 v[32:33], v[32:33], s[6:7]
	v_and_or_b32 v1, 0x1ff, v33, v32
	v_lshrrev_b32_e32 v7, 8, v33
	s_delay_alu instid0(VALU_DEP_2) | instskip(NEXT) | instid1(VALU_DEP_1)
	v_cmp_ne_u32_e64 s2, 0, v1
	v_cndmask_b32_e64 v1, 0, 1, s2
	s_delay_alu instid0(VALU_DEP_1) | instskip(SKIP_1) | instid1(VALU_DEP_2)
	v_and_or_b32 v1, 0xffe, v7, v1
	v_bfe_u32 v7, v33, 20, 11
	v_or_b32_e32 v32, 0x1000, v1
	s_delay_alu instid0(VALU_DEP_2) | instskip(SKIP_2) | instid1(VALU_DEP_3)
	v_sub_nc_u32_e32 v17, 0x3f1, v7
	v_add_nc_u32_e32 v7, 0xfffffc10, v7
	v_cmp_ne_u32_e64 s5, 0, v1
	v_med3_i32 v17, v17, 0, 13
	s_delay_alu instid0(VALU_DEP_1) | instskip(NEXT) | instid1(VALU_DEP_1)
	v_lshrrev_b32_e32 v37, v17, v32
	v_lshlrev_b32_e32 v17, v17, v37
	s_delay_alu instid0(VALU_DEP_1) | instskip(SKIP_3) | instid1(VALU_DEP_4)
	v_cmp_ne_u32_e64 s2, v17, v32
	v_lshl_or_b32 v32, v7, 12, v1
	v_cndmask_b32_e64 v1, 0, 1, vcc_lo
	v_cmp_gt_i32_e32 vcc_lo, 1, v15
	v_cndmask_b32_e64 v17, 0, 1, s2
	v_cmp_gt_i32_e64 s2, 1, v7
	s_delay_alu instid0(VALU_DEP_4) | instskip(SKIP_1) | instid1(VALU_DEP_4)
	v_or_b32_e32 v1, v23, v1
	v_lshl_or_b32 v23, v15, 12, v11
	v_or_b32_e32 v17, v37, v17
	s_delay_alu instid0(VALU_DEP_2) | instskip(SKIP_1) | instid1(VALU_DEP_3)
	v_cndmask_b32_e32 v1, v23, v1, vcc_lo
	v_cndmask_b32_e64 v23, 0, 1, s5
	v_cndmask_b32_e64 v17, v32, v17, s2
	s_delay_alu instid0(VALU_DEP_2) | instskip(NEXT) | instid1(VALU_DEP_2)
	v_lshl_or_b32 v23, v23, 9, 0x7c00
	v_and_b32_e32 v32, 7, v17
	v_lshrrev_b32_e32 v17, 2, v17
	s_delay_alu instid0(VALU_DEP_2) | instskip(SKIP_1) | instid1(VALU_DEP_1)
	v_cmp_lt_i32_e64 s2, 5, v32
	v_cmp_eq_u32_e64 s4, 3, v32
	s_or_b32 vcc_lo, s4, s2
	v_cmp_ne_u32_e64 s4, 0, v11
	v_add_co_ci_u32_e32 v17, vcc_lo, 0, v17, vcc_lo
	v_cmp_gt_i32_e32 vcc_lo, 31, v7
	s_delay_alu instid0(VALU_DEP_3) | instskip(NEXT) | instid1(VALU_DEP_3)
	v_cndmask_b32_e64 v11, 0, 1, s4
	v_cndmask_b32_e32 v17, 0x7c00, v17, vcc_lo
	v_cmp_eq_u32_e32 vcc_lo, 0x40f, v7
	s_delay_alu instid0(VALU_DEP_3) | instskip(NEXT) | instid1(VALU_DEP_3)
	v_lshl_or_b32 v11, v11, 9, 0x7c00
	v_cndmask_b32_e32 v7, v17, v23, vcc_lo
	v_and_b32_e32 v23, 7, v1
	v_lshrrev_b32_e32 v1, 2, v1
	v_lshrrev_b32_e32 v17, 16, v33
	s_delay_alu instid0(VALU_DEP_3) | instskip(SKIP_1) | instid1(VALU_DEP_3)
	v_cmp_lt_i32_e32 vcc_lo, 5, v23
	v_cmp_eq_u32_e64 s2, 3, v23
	v_and_or_b32 v7, 0x8000, v17, v7
	s_delay_alu instid0(VALU_DEP_2) | instskip(NEXT) | instid1(VALU_DEP_1)
	s_or_b32 vcc_lo, s2, vcc_lo
	v_and_b32_e32 v7, 0xffff, v7
	v_add_co_ci_u32_e32 v1, vcc_lo, 0, v1, vcc_lo
	v_cmp_gt_i32_e32 vcc_lo, 31, v15
	s_delay_alu instid0(VALU_DEP_2) | instskip(SKIP_1) | instid1(VALU_DEP_2)
	v_cndmask_b32_e32 v1, 0x7c00, v1, vcc_lo
	v_cmp_eq_u32_e32 vcc_lo, 0x40f, v15
	v_cndmask_b32_e32 v1, v1, v11, vcc_lo
	v_lshrrev_b32_e32 v11, 16, v16
	v_add_co_u32 v16, vcc_lo, v28, s11
	v_add_co_ci_u32_e32 v17, vcc_lo, s10, v29, vcc_lo
	s_delay_alu instid0(VALU_DEP_3) | instskip(NEXT) | instid1(VALU_DEP_1)
	v_and_or_b32 v1, 0x8000, v11, v1
	v_lshl_or_b32 v1, v1, 16, v7
	global_store_b32 v[28:29], v1, off
	v_cvt_f32_f16_e32 v1, v24
	s_delay_alu instid0(VALU_DEP_1) | instskip(NEXT) | instid1(VALU_DEP_1)
	v_cvt_f64_f32_e32 v[23:24], v1
	v_mul_f64 v[23:24], v[23:24], s[6:7]
	s_delay_alu instid0(VALU_DEP_1) | instskip(SKIP_2) | instid1(VALU_DEP_3)
	v_and_or_b32 v1, 0x1ff, v24, v23
	v_lshrrev_b32_e32 v7, 8, v24
	v_bfe_u32 v33, v24, 20, 11
	v_cmp_ne_u32_e32 vcc_lo, 0, v1
	v_cndmask_b32_e64 v1, 0, 1, vcc_lo
	s_delay_alu instid0(VALU_DEP_1) | instskip(NEXT) | instid1(VALU_DEP_4)
	v_and_or_b32 v32, 0xffe, v7, v1
	v_sub_nc_u32_e32 v1, 0x3f1, v33
	s_delay_alu instid0(VALU_DEP_2) | instskip(NEXT) | instid1(VALU_DEP_2)
	v_or_b32_e32 v7, 0x1000, v32
	v_med3_i32 v1, v1, 0, 13
	s_delay_alu instid0(VALU_DEP_1) | instskip(NEXT) | instid1(VALU_DEP_1)
	v_lshrrev_b32_e32 v37, v1, v7
	v_lshlrev_b32_e32 v1, v1, v37
	s_delay_alu instid0(VALU_DEP_1) | instskip(SKIP_1) | instid1(VALU_DEP_1)
	v_cmp_ne_u32_e64 s2, v1, v7
	v_mul_f16_e32 v1, v41, v34
	v_fmac_f16_e32 v1, v38, v12
	scratch_load_b32 v38, off, off offset:144 ; 4-byte Folded Reload
	v_cvt_f32_f16_e32 v1, v1
	s_delay_alu instid0(VALU_DEP_1) | instskip(NEXT) | instid1(VALU_DEP_1)
	v_cvt_f64_f32_e32 v[11:12], v1
	v_mul_f64 v[11:12], v[11:12], s[6:7]
	s_delay_alu instid0(VALU_DEP_1) | instskip(SKIP_1) | instid1(VALU_DEP_2)
	v_and_or_b32 v1, 0x1ff, v12, v11
	v_lshrrev_b32_e32 v7, 8, v12
	v_cmp_ne_u32_e32 vcc_lo, 0, v1
	v_cndmask_b32_e64 v1, 0, 1, vcc_lo
	s_delay_alu instid0(VALU_DEP_1) | instskip(SKIP_1) | instid1(VALU_DEP_2)
	v_and_or_b32 v1, 0xffe, v7, v1
	v_bfe_u32 v7, v12, 20, 11
	v_or_b32_e32 v15, 0x1000, v1
	s_delay_alu instid0(VALU_DEP_2) | instskip(SKIP_2) | instid1(VALU_DEP_3)
	v_sub_nc_u32_e32 v11, 0x3f1, v7
	v_add_nc_u32_e32 v7, 0xfffffc10, v7
	v_cmp_ne_u32_e64 s5, 0, v1
	v_med3_i32 v11, v11, 0, 13
	s_delay_alu instid0(VALU_DEP_1) | instskip(NEXT) | instid1(VALU_DEP_1)
	v_lshrrev_b32_e32 v23, v11, v15
	v_lshlrev_b32_e32 v11, v11, v23
	s_delay_alu instid0(VALU_DEP_1) | instskip(SKIP_4) | instid1(VALU_DEP_3)
	v_cmp_ne_u32_e32 vcc_lo, v11, v15
	v_lshl_or_b32 v15, v7, 12, v1
	v_cndmask_b32_e64 v1, 0, 1, s3
	v_cndmask_b32_e64 v11, 0, 1, vcc_lo
	v_cmp_gt_i32_e32 vcc_lo, 1, v7
	v_or_b32_e32 v1, v36, v1
	scratch_load_b32 v36, off, off offset:140 ; 4-byte Folded Reload
	v_or_b32_e32 v11, v23, v11
	s_delay_alu instid0(VALU_DEP_1) | instskip(NEXT) | instid1(VALU_DEP_1)
	v_cndmask_b32_e32 v11, v15, v11, vcc_lo
	v_and_b32_e32 v15, 7, v11
	v_lshrrev_b32_e32 v11, 2, v11
	s_delay_alu instid0(VALU_DEP_2) | instskip(SKIP_2) | instid1(VALU_DEP_2)
	v_cmp_lt_i32_e32 vcc_lo, 5, v15
	v_cmp_eq_u32_e64 s4, 3, v15
	v_add_nc_u32_e32 v15, 0xfffffc10, v35
	s_or_b32 vcc_lo, s4, vcc_lo
	s_delay_alu instid0(VALU_DEP_1) | instskip(SKIP_4) | instid1(VALU_DEP_4)
	v_lshl_or_b32 v23, v15, 12, v30
	v_cmp_gt_i32_e64 s3, 1, v15
	v_add_co_ci_u32_e32 v11, vcc_lo, 0, v11, vcc_lo
	v_cmp_gt_i32_e32 vcc_lo, 31, v7
	v_cmp_ne_u32_e64 s4, 0, v30
	v_cndmask_b32_e64 v1, v23, v1, s3
	v_cndmask_b32_e64 v23, 0, 1, s5
	v_cndmask_b32_e32 v11, 0x7c00, v11, vcc_lo
	v_cmp_eq_u32_e32 vcc_lo, 0x40f, v7
	s_delay_alu instid0(VALU_DEP_3) | instskip(NEXT) | instid1(VALU_DEP_1)
	v_lshl_or_b32 v23, v23, 9, 0x7c00
	v_cndmask_b32_e32 v7, v11, v23, vcc_lo
	v_lshrrev_b32_e32 v11, 16, v12
	v_and_b32_e32 v12, 7, v1
	v_lshrrev_b32_e32 v1, 2, v1
	s_delay_alu instid0(VALU_DEP_3) | instskip(NEXT) | instid1(VALU_DEP_3)
	v_and_or_b32 v7, 0x8000, v11, v7
	v_cmp_lt_i32_e32 vcc_lo, 5, v12
	v_cmp_eq_u32_e64 s3, 3, v12
	v_cndmask_b32_e64 v12, 0, 1, s4
	scratch_load_b32 v11, off, off offset:148 ; 4-byte Folded Reload
	v_and_b32_e32 v7, 0xffff, v7
	s_or_b32 vcc_lo, s3, vcc_lo
	v_lshl_or_b32 v12, v12, 9, 0x7c00
	v_add_co_ci_u32_e32 v1, vcc_lo, 0, v1, vcc_lo
	v_cmp_gt_i32_e32 vcc_lo, 31, v15
	s_delay_alu instid0(VALU_DEP_2) | instskip(SKIP_1) | instid1(VALU_DEP_2)
	v_cndmask_b32_e32 v1, 0x7c00, v1, vcc_lo
	v_cmp_eq_u32_e32 vcc_lo, 0x40f, v15
	v_cndmask_b32_e32 v1, v1, v12, vcc_lo
	v_lshrrev_b32_e32 v12, 16, v31
	s_delay_alu instid0(VALU_DEP_1)
	v_and_or_b32 v1, 0x8000, v12, v1
	scratch_load_b32 v12, off, off offset:136 ; 4-byte Folded Reload
	v_lshl_or_b32 v1, v1, 16, v7
	v_lshrrev_b32_e32 v7, 16, v14
	global_store_b32 v[16:17], v1, off
	v_add_co_u32 v16, vcc_lo, v16, s11
	v_add_co_ci_u32_e32 v17, vcc_lo, s10, v17, vcc_lo
	s_waitcnt vmcnt(1)
	v_mul_f16_e32 v1, v11, v7
	v_mul_f16_e32 v11, v11, v14
	s_waitcnt vmcnt(0)
	s_delay_alu instid0(VALU_DEP_2)
	v_fmac_f16_e32 v1, v12, v14
	ds_load_2addr_stride64_b32 v[14:15], v58 offset0:8 offset1:10
	v_fma_f16 v28, v12, v7, -v11
	v_cvt_f32_f16_e32 v1, v1
	s_waitcnt lgkmcnt(0)
	v_lshrrev_b32_e32 v23, 16, v14
	v_mul_f16_e32 v7, v38, v14
	s_delay_alu instid0(VALU_DEP_1) | instskip(NEXT) | instid1(VALU_DEP_1)
	v_fma_f16 v7, v36, v23, -v7
	v_cvt_f32_f16_e32 v7, v7
	s_delay_alu instid0(VALU_DEP_1) | instskip(NEXT) | instid1(VALU_DEP_1)
	v_cvt_f64_f32_e32 v[11:12], v7
	v_mul_f64 v[11:12], v[11:12], s[6:7]
	s_delay_alu instid0(VALU_DEP_1) | instskip(SKIP_1) | instid1(VALU_DEP_2)
	v_and_or_b32 v7, 0x1ff, v12, v11
	v_lshrrev_b32_e32 v11, 8, v12
	v_cmp_ne_u32_e32 vcc_lo, 0, v7
	v_cndmask_b32_e64 v7, 0, 1, vcc_lo
	s_delay_alu instid0(VALU_DEP_1) | instskip(SKIP_1) | instid1(VALU_DEP_2)
	v_and_or_b32 v7, 0xffe, v11, v7
	v_bfe_u32 v11, v12, 20, 11
	v_or_b32_e32 v31, 0x1000, v7
	s_delay_alu instid0(VALU_DEP_2) | instskip(NEXT) | instid1(VALU_DEP_1)
	v_sub_nc_u32_e32 v29, 0x3f1, v11
	v_med3_i32 v30, v29, 0, 13
	s_delay_alu instid0(VALU_DEP_1) | instskip(NEXT) | instid1(VALU_DEP_1)
	v_lshrrev_b32_e32 v29, v30, v31
	v_lshlrev_b32_e32 v30, v30, v29
	s_delay_alu instid0(VALU_DEP_1) | instskip(SKIP_1) | instid1(VALU_DEP_1)
	v_cmp_ne_u32_e32 vcc_lo, v30, v31
	v_cvt_f64_f32_e32 v[30:31], v3
	v_mul_f64 v[30:31], v[30:31], s[6:7]
	s_delay_alu instid0(VALU_DEP_1) | instskip(SKIP_1) | instid1(VALU_DEP_2)
	v_and_or_b32 v3, 0x1ff, v31, v30
	v_lshrrev_b32_e32 v27, 8, v31
	v_cmp_ne_u32_e64 s3, 0, v3
	s_delay_alu instid0(VALU_DEP_1) | instskip(NEXT) | instid1(VALU_DEP_1)
	v_cndmask_b32_e64 v3, 0, 1, s3
	v_and_or_b32 v3, 0xffe, v27, v3
	v_bfe_u32 v27, v31, 20, 11
	s_delay_alu instid0(VALU_DEP_2) | instskip(NEXT) | instid1(VALU_DEP_2)
	v_or_b32_e32 v34, 0x1000, v3
	v_sub_nc_u32_e32 v30, 0x3f1, v27
	v_add_nc_u32_e32 v27, 0xfffffc10, v27
	v_cmp_ne_u32_e64 s5, 0, v3
	s_delay_alu instid0(VALU_DEP_3) | instskip(NEXT) | instid1(VALU_DEP_1)
	v_med3_i32 v30, v30, 0, 13
	v_lshrrev_b32_e32 v35, v30, v34
	s_delay_alu instid0(VALU_DEP_1) | instskip(NEXT) | instid1(VALU_DEP_1)
	v_lshlrev_b32_e32 v30, v30, v35
	v_cmp_ne_u32_e64 s3, v30, v34
	v_lshl_or_b32 v34, v27, 12, v3
	v_cndmask_b32_e64 v3, 0, 1, s0
	v_cmp_gt_i32_e64 s0, 1, v9
	s_delay_alu instid0(VALU_DEP_4) | instskip(SKIP_1) | instid1(VALU_DEP_4)
	v_cndmask_b32_e64 v30, 0, 1, s3
	v_cmp_gt_i32_e64 s3, 1, v27
	v_or_b32_e32 v3, v19, v3
	v_lshl_or_b32 v19, v9, 12, v5
	s_delay_alu instid0(VALU_DEP_4) | instskip(NEXT) | instid1(VALU_DEP_2)
	v_or_b32_e32 v30, v35, v30
	v_cndmask_b32_e64 v3, v19, v3, s0
	s_delay_alu instid0(VALU_DEP_2) | instskip(NEXT) | instid1(VALU_DEP_1)
	v_cndmask_b32_e64 v30, v34, v30, s3
	v_and_b32_e32 v34, 7, v30
	v_lshrrev_b32_e32 v19, 2, v30
	v_cndmask_b32_e64 v30, 0, 1, s5
	s_delay_alu instid0(VALU_DEP_3) | instskip(SKIP_1) | instid1(VALU_DEP_3)
	v_cmp_lt_i32_e64 s3, 5, v34
	v_cmp_eq_u32_e64 s4, 3, v34
	v_lshl_or_b32 v30, v30, 9, 0x7c00
	s_delay_alu instid0(VALU_DEP_2) | instskip(SKIP_4) | instid1(VALU_DEP_2)
	s_or_b32 s0, s4, s3
	v_cmp_ne_u32_e64 s4, 0, v5
	v_add_co_ci_u32_e64 v19, s0, 0, v19, s0
	v_cmp_gt_i32_e64 s0, 31, v27
	v_cndmask_b32_e64 v5, 0, 1, s1
	v_cndmask_b32_e64 v19, 0x7c00, v19, s0
	v_cmp_eq_u32_e64 s0, 0x40f, v27
	v_and_b32_e32 v27, 7, v3
	v_lshrrev_b32_e32 v3, 2, v3
	v_or_b32_e32 v5, v26, v5
	v_cndmask_b32_e64 v26, 0, 1, s4
	v_cndmask_b32_e64 v19, v19, v30, s0
	v_cmp_lt_i32_e64 s0, 5, v27
	v_cmp_eq_u32_e64 s3, 3, v27
	v_lshrrev_b32_e32 v27, 16, v31
	v_lshl_or_b32 v26, v26, 9, 0x7c00
	s_delay_alu instid0(VALU_DEP_3) | instskip(NEXT) | instid1(VALU_DEP_2)
	s_or_b32 s0, s3, s0
	v_and_or_b32 v19, 0x8000, v27, v19
	v_add_co_ci_u32_e64 v3, s0, 0, v3, s0
	v_cmp_gt_i32_e64 s0, 31, v9
	v_cmp_ne_u32_e64 s3, 0, v21
	s_delay_alu instid0(VALU_DEP_2) | instskip(SKIP_3) | instid1(VALU_DEP_3)
	v_cndmask_b32_e64 v3, 0x7c00, v3, s0
	v_cmp_eq_u32_e64 s0, 0x40f, v9
	v_lshrrev_b32_e32 v9, 16, v20
	v_add_nc_u32_e32 v20, 0xfffffc10, v25
	v_cndmask_b32_e64 v3, v3, v26, s0
	v_lshrrev_b32_e32 v26, 16, v18
	s_delay_alu instid0(VALU_DEP_3) | instskip(SKIP_1) | instid1(VALU_DEP_4)
	v_lshl_or_b32 v25, v20, 12, v21
	v_cmp_gt_i32_e64 s0, 1, v20
	v_and_or_b32 v3, 0x8000, v9, v3
	s_delay_alu instid0(VALU_DEP_2) | instskip(NEXT) | instid1(VALU_DEP_1)
	v_cndmask_b32_e64 v5, v25, v5, s0
	v_and_b32_e32 v9, 7, v5
	v_lshrrev_b32_e32 v5, 2, v5
	s_delay_alu instid0(VALU_DEP_2) | instskip(SKIP_3) | instid1(VALU_DEP_3)
	v_cmp_lt_i32_e64 s0, 5, v9
	v_cmp_eq_u32_e64 s1, 3, v9
	v_and_b32_e32 v9, 0xffff, v19
	v_add_nc_u32_e32 v19, 0xfffffc10, v33
	s_or_b32 s0, s1, s0
	s_delay_alu instid0(VALU_DEP_2) | instskip(SKIP_1) | instid1(VALU_DEP_3)
	v_lshl_or_b32 v3, v3, 16, v9
	v_cndmask_b32_e64 v9, 0, 1, s2
	v_lshl_or_b32 v21, v19, 12, v32
	v_cmp_gt_i32_e64 s2, 1, v19
	v_add_co_ci_u32_e64 v5, s0, 0, v5, s0
	s_delay_alu instid0(VALU_DEP_4)
	v_or_b32_e32 v9, v37, v9
	v_cmp_gt_i32_e64 s0, 31, v20
	global_store_b32 v[16:17], v3, off
	v_cvt_f32_f16_e32 v3, v28
	scratch_load_b32 v37, off, off offset:104 ; 4-byte Folded Reload
	v_cndmask_b32_e64 v9, v21, v9, s2
	v_cndmask_b32_e64 v21, 0, 1, s3
	;; [unrolled: 1-line block ×3, first 2 shown]
	v_cmp_eq_u32_e64 s0, 0x40f, v20
	v_cmp_ne_u32_e64 s2, 0, v32
	v_lshrrev_b32_e32 v20, 16, v22
	v_lshl_or_b32 v21, v21, 9, 0x7c00
	s_delay_alu instid0(VALU_DEP_1) | instskip(SKIP_2) | instid1(VALU_DEP_3)
	v_cndmask_b32_e64 v5, v5, v21, s0
	v_and_b32_e32 v21, 7, v9
	v_lshrrev_b32_e32 v9, 2, v9
	v_and_or_b32 v5, 0x8000, v20, v5
	s_delay_alu instid0(VALU_DEP_3) | instskip(SKIP_2) | instid1(VALU_DEP_2)
	v_cmp_lt_i32_e64 s0, 5, v21
	v_cmp_eq_u32_e64 s1, 3, v21
	v_cndmask_b32_e64 v21, 0, 1, s2
	s_or_b32 s0, s1, s0
	s_delay_alu instid0(VALU_DEP_1) | instskip(SKIP_2) | instid1(VALU_DEP_1)
	v_lshl_or_b32 v21, v21, 9, 0x7c00
	v_add_co_ci_u32_e64 v9, s0, 0, v9, s0
	v_cmp_gt_i32_e64 s0, 31, v19
	v_cndmask_b32_e64 v9, 0x7c00, v9, s0
	v_cmp_eq_u32_e64 s0, 0x40f, v19
	v_lshrrev_b32_e32 v19, 16, v24
	scratch_load_b32 v24, off, off offset:120 ; 4-byte Folded Reload
	v_cndmask_b32_e64 v9, v9, v21, s0
	s_mul_i32 s0, s9, 0xffffcc00
	s_delay_alu instid0(SALU_CYCLE_1) | instskip(NEXT) | instid1(VALU_DEP_1)
	s_sub_i32 s9, s0, s8
	v_and_or_b32 v9, 0x8000, v19, v9
	v_cvt_f64_f32_e32 v[19:20], v3
	v_and_b32_e32 v3, 0xffff, v5
	s_delay_alu instid0(VALU_DEP_1) | instskip(SKIP_3) | instid1(VALU_DEP_1)
	v_lshl_or_b32 v3, v9, 16, v3
	scratch_load_b32 v9, off, off offset:132 ; 4-byte Folded Reload
	v_mul_f64 v[21:22], v[19:20], s[6:7]
	v_mad_u64_u32 v[19:20], null, 0xffffcc00, s8, v[16:17]
	v_add_nc_u32_e32 v20, s9, v20
	global_store_b32 v[19:20], v3, off
	v_add_co_u32 v19, s0, v19, s11
	s_delay_alu instid0(VALU_DEP_1) | instskip(SKIP_4) | instid1(VALU_DEP_4)
	v_add_co_ci_u32_e64 v20, s0, s10, v20, s0
	v_and_or_b32 v3, 0x1ff, v22, v21
	v_lshrrev_b32_e32 v5, 8, v22
	v_bfe_u32 v30, v22, 20, 11
	v_lshrrev_b32_e32 v22, 16, v22
	v_cmp_ne_u32_e64 s0, 0, v3
	s_delay_alu instid0(VALU_DEP_1) | instskip(NEXT) | instid1(VALU_DEP_1)
	v_cndmask_b32_e64 v3, 0, 1, s0
	v_and_or_b32 v28, 0xffe, v5, v3
	v_sub_nc_u32_e32 v3, 0x3f1, v30
	s_delay_alu instid0(VALU_DEP_2) | instskip(NEXT) | instid1(VALU_DEP_2)
	v_or_b32_e32 v5, 0x1000, v28
	v_med3_i32 v3, v3, 0, 13
	s_delay_alu instid0(VALU_DEP_1) | instskip(NEXT) | instid1(VALU_DEP_1)
	v_lshrrev_b32_e32 v31, v3, v5
	v_lshlrev_b32_e32 v3, v3, v31
	s_delay_alu instid0(VALU_DEP_1) | instskip(SKIP_2) | instid1(VALU_DEP_1)
	v_cmp_ne_u32_e64 s1, v3, v5
	v_lshrrev_b32_e32 v5, 16, v10
	s_waitcnt vmcnt(0)
	v_mul_f16_e32 v3, v9, v5
	v_mul_f16_e32 v21, v9, v10
	;; [unrolled: 1-line block ×3, first 2 shown]
	s_delay_alu instid0(VALU_DEP_3) | instskip(NEXT) | instid1(VALU_DEP_3)
	v_fmac_f16_e32 v3, v24, v10
	v_fma_f16 v5, v24, v5, -v21
	s_delay_alu instid0(VALU_DEP_3) | instskip(NEXT) | instid1(VALU_DEP_3)
	v_fmac_f16_e32 v9, v36, v14
	v_cvt_f32_f16_e32 v3, v3
	s_delay_alu instid0(VALU_DEP_3) | instskip(NEXT) | instid1(VALU_DEP_3)
	v_cvt_f32_f16_e32 v5, v5
	v_cvt_f32_f16_e32 v9, v9
	s_delay_alu instid0(VALU_DEP_1) | instskip(NEXT) | instid1(VALU_DEP_1)
	v_cvt_f64_f32_e32 v[9:10], v9
	v_mul_f64 v[9:10], v[9:10], s[6:7]
	s_delay_alu instid0(VALU_DEP_1) | instskip(SKIP_1) | instid1(VALU_DEP_2)
	v_and_or_b32 v9, 0x1ff, v10, v9
	v_lshrrev_b32_e32 v14, 8, v10
	v_cmp_ne_u32_e64 s0, 0, v9
	s_delay_alu instid0(VALU_DEP_1) | instskip(NEXT) | instid1(VALU_DEP_1)
	v_cndmask_b32_e64 v9, 0, 1, s0
	v_and_or_b32 v9, 0xffe, v14, v9
	v_bfe_u32 v14, v10, 20, 11
	v_lshrrev_b32_e32 v10, 16, v10
	s_delay_alu instid0(VALU_DEP_3) | instskip(NEXT) | instid1(VALU_DEP_3)
	v_or_b32_e32 v17, 0x1000, v9
	v_sub_nc_u32_e32 v16, 0x3f1, v14
	v_add_nc_u32_e32 v14, 0xfffffc10, v14
	s_delay_alu instid0(VALU_DEP_2) | instskip(NEXT) | instid1(VALU_DEP_1)
	v_med3_i32 v16, v16, 0, 13
	v_lshrrev_b32_e32 v23, v16, v17
	s_delay_alu instid0(VALU_DEP_1) | instskip(NEXT) | instid1(VALU_DEP_1)
	v_lshlrev_b32_e32 v16, v16, v23
	v_cmp_ne_u32_e64 s0, v16, v17
	v_lshl_or_b32 v17, v14, 12, v9
	s_delay_alu instid0(VALU_DEP_2) | instskip(SKIP_1) | instid1(VALU_DEP_2)
	v_cndmask_b32_e64 v16, 0, 1, s0
	v_cmp_gt_i32_e64 s0, 1, v14
	v_or_b32_e32 v16, v23, v16
	s_delay_alu instid0(VALU_DEP_1) | instskip(NEXT) | instid1(VALU_DEP_1)
	v_cndmask_b32_e64 v16, v17, v16, s0
	v_and_b32_e32 v17, 7, v16
	v_lshrrev_b32_e32 v16, 2, v16
	s_delay_alu instid0(VALU_DEP_2) | instskip(SKIP_4) | instid1(VALU_DEP_4)
	v_cmp_lt_i32_e64 s0, 5, v17
	v_cmp_eq_u32_e64 s2, 3, v17
	v_cndmask_b32_e64 v17, 0, 1, vcc_lo
	v_cmp_ne_u32_e32 vcc_lo, 0, v9
	v_add_nc_u32_e32 v9, 0xfffffc10, v11
	s_or_b32 s0, s2, s0
	s_delay_alu instid0(VALU_DEP_3) | instskip(SKIP_1) | instid1(VALU_DEP_3)
	v_or_b32_e32 v17, v29, v17
	v_add_co_ci_u32_e64 v16, s0, 0, v16, s0
	v_lshl_or_b32 v11, v9, 12, v7
	v_cmp_gt_i32_e64 s3, 1, v9
	v_cmp_gt_i32_e64 s0, 31, v14
	s_delay_alu instid0(VALU_DEP_2) | instskip(SKIP_1) | instid1(VALU_DEP_3)
	v_cndmask_b32_e64 v11, v11, v17, s3
	v_cndmask_b32_e64 v17, 0, 1, vcc_lo
	v_cndmask_b32_e64 v16, 0x7c00, v16, s0
	v_cmp_eq_u32_e32 vcc_lo, 0x40f, v14
	s_delay_alu instid0(VALU_DEP_3) | instskip(NEXT) | instid1(VALU_DEP_1)
	v_lshl_or_b32 v17, v17, 9, 0x7c00
	v_cndmask_b32_e32 v14, v16, v17, vcc_lo
	v_and_b32_e32 v16, 7, v11
	v_lshrrev_b32_e32 v11, 2, v11
	s_delay_alu instid0(VALU_DEP_3) | instskip(NEXT) | instid1(VALU_DEP_3)
	v_and_or_b32 v14, 0x8000, v10, v14
	v_cmp_lt_i32_e32 vcc_lo, 5, v16
	v_cmp_eq_u32_e64 s0, 3, v16
	ds_load_2addr_stride64_b32 v[16:17], v58 offset0:20 offset1:22
	s_or_b32 vcc_lo, s0, vcc_lo
	v_add_co_ci_u32_e32 v11, vcc_lo, 0, v11, vcc_lo
	v_cmp_ne_u32_e32 vcc_lo, 0, v7
	v_cndmask_b32_e64 v7, 0, 1, vcc_lo
	v_cmp_gt_i32_e32 vcc_lo, 31, v9
	s_delay_alu instid0(VALU_DEP_2)
	v_lshl_or_b32 v7, v7, 9, 0x7c00
	v_cndmask_b32_e32 v11, 0x7c00, v11, vcc_lo
	s_waitcnt lgkmcnt(0)
	v_lshrrev_b32_e32 v29, 16, v16
	v_mul_f16_e32 v10, v40, v16
	v_cmp_eq_u32_e32 vcc_lo, 0x40f, v9
	v_lshrrev_b32_e32 v9, 16, v12
	s_delay_alu instid0(VALU_DEP_3) | instskip(SKIP_3) | instid1(VALU_DEP_4)
	v_fma_f16 v10, v39, v29, -v10
	v_cndmask_b32_e32 v7, v11, v7, vcc_lo
	v_add_co_u32 v23, vcc_lo, v19, s11
	v_add_co_ci_u32_e32 v24, vcc_lo, s10, v20, vcc_lo
	v_cvt_f32_f16_e32 v10, v10
	s_delay_alu instid0(VALU_DEP_4) | instskip(NEXT) | instid1(VALU_DEP_2)
	v_and_or_b32 v7, 0x8000, v9, v7
	v_cvt_f64_f32_e32 v[9:10], v10
	s_delay_alu instid0(VALU_DEP_1) | instskip(SKIP_1) | instid1(VALU_DEP_1)
	v_mul_f64 v[11:12], v[9:10], s[6:7]
	v_and_b32_e32 v9, 0xffff, v14
	v_lshl_or_b32 v7, v7, 16, v9
	global_store_b32 v[19:20], v7, off
	scratch_load_b32 v20, off, off offset:112 ; 4-byte Folded Reload
	v_and_or_b32 v7, 0x1ff, v12, v11
	v_bfe_u32 v32, v12, 20, 11
	v_lshrrev_b32_e32 v9, 8, v12
	v_lshrrev_b32_e32 v12, 16, v12
	s_delay_alu instid0(VALU_DEP_4) | instskip(NEXT) | instid1(VALU_DEP_4)
	v_cmp_ne_u32_e32 vcc_lo, 0, v7
	v_sub_nc_u32_e32 v10, 0x3f1, v32
	v_cndmask_b32_e64 v7, 0, 1, vcc_lo
	s_delay_alu instid0(VALU_DEP_1) | instskip(NEXT) | instid1(VALU_DEP_3)
	v_and_or_b32 v33, 0xffe, v9, v7
	v_med3_i32 v7, v10, 0, 13
	s_delay_alu instid0(VALU_DEP_2) | instskip(NEXT) | instid1(VALU_DEP_1)
	v_or_b32_e32 v9, 0x1000, v33
	v_lshrrev_b32_e32 v34, v7, v9
	s_delay_alu instid0(VALU_DEP_1) | instskip(NEXT) | instid1(VALU_DEP_1)
	v_lshlrev_b32_e32 v7, v7, v34
	v_cmp_ne_u32_e64 s2, v7, v9
	v_cvt_f64_f32_e32 v[9:10], v5
	s_delay_alu instid0(VALU_DEP_1) | instskip(NEXT) | instid1(VALU_DEP_1)
	v_mul_f64 v[10:11], v[9:10], s[6:7]
	v_and_or_b32 v5, 0x1ff, v11, v10
	v_lshrrev_b32_e32 v7, 8, v11
	v_bfe_u32 v19, v11, 20, 11
	v_lshrrev_b32_e32 v11, 16, v11
	s_delay_alu instid0(VALU_DEP_4) | instskip(SKIP_1) | instid1(VALU_DEP_1)
	v_cmp_ne_u32_e32 vcc_lo, 0, v5
	v_cndmask_b32_e64 v5, 0, 1, vcc_lo
	v_and_or_b32 v7, 0xffe, v7, v5
	v_sub_nc_u32_e32 v5, 0x3f1, v19
	s_delay_alu instid0(VALU_DEP_2) | instskip(NEXT) | instid1(VALU_DEP_2)
	v_or_b32_e32 v9, 0x1000, v7
	v_med3_i32 v5, v5, 0, 13
	s_delay_alu instid0(VALU_DEP_1) | instskip(NEXT) | instid1(VALU_DEP_1)
	v_lshrrev_b32_e32 v25, v5, v9
	v_lshlrev_b32_e32 v5, v5, v25
	s_delay_alu instid0(VALU_DEP_1)
	v_cmp_ne_u32_e32 vcc_lo, v5, v9
	scratch_load_b32 v5, off, off offset:108 ; 4-byte Folded Reload
	ds_load_2addr_stride64_b32 v[9:10], v58 offset0:32 offset1:34
	s_waitcnt vmcnt(0)
	v_mul_f16_e32 v35, v5, v26
	v_mul_f16_e32 v27, v5, v18
	s_waitcnt lgkmcnt(0)
	v_lshrrev_b32_e32 v5, 16, v9
	s_delay_alu instid0(VALU_DEP_3) | instskip(SKIP_4) | instid1(VALU_DEP_2)
	v_fmac_f16_e32 v35, v37, v18
	scratch_load_b32 v18, off, off offset:116 ; 4-byte Folded Reload
	s_waitcnt vmcnt(0)
	v_mul_f16_e32 v14, v18, v9
	v_mul_f16_e32 v18, v18, v5
	v_fma_f16 v36, v20, v5, -v14
	s_delay_alu instid0(VALU_DEP_2) | instskip(NEXT) | instid1(VALU_DEP_1)
	v_fmac_f16_e32 v18, v20, v9
	v_cvt_f32_f16_e32 v5, v18
	s_delay_alu instid0(VALU_DEP_1) | instskip(NEXT) | instid1(VALU_DEP_1)
	v_cvt_f64_f32_e32 v[20:21], v5
	v_mul_f64 v[20:21], v[20:21], s[6:7]
	s_delay_alu instid0(VALU_DEP_1) | instskip(SKIP_2) | instid1(VALU_DEP_3)
	v_and_or_b32 v5, 0x1ff, v21, v20
	v_lshrrev_b32_e32 v9, 8, v21
	v_bfe_u32 v14, v21, 20, 11
	v_cmp_ne_u32_e64 s0, 0, v5
	s_delay_alu instid0(VALU_DEP_1) | instskip(NEXT) | instid1(VALU_DEP_1)
	v_cndmask_b32_e64 v5, 0, 1, s0
	v_and_or_b32 v5, 0xffe, v9, v5
	s_delay_alu instid0(VALU_DEP_4) | instskip(SKIP_1) | instid1(VALU_DEP_3)
	v_sub_nc_u32_e32 v9, 0x3f1, v14
	v_add_nc_u32_e32 v14, 0xfffffc10, v14
	v_or_b32_e32 v20, 0x1000, v5
	s_delay_alu instid0(VALU_DEP_3) | instskip(NEXT) | instid1(VALU_DEP_1)
	v_med3_i32 v9, v9, 0, 13
	v_lshrrev_b32_e32 v18, v9, v20
	s_delay_alu instid0(VALU_DEP_1) | instskip(NEXT) | instid1(VALU_DEP_1)
	v_lshlrev_b32_e32 v9, v9, v18
	v_cmp_ne_u32_e64 s0, v9, v20
	v_fma_f16 v20, v37, v26, -v27
	v_cvt_f64_f32_e32 v[26:27], v1
	s_delay_alu instid0(VALU_DEP_2) | instskip(NEXT) | instid1(VALU_DEP_2)
	v_cvt_f32_f16_e32 v20, v20
	v_mul_f64 v[26:27], v[26:27], s[6:7]
	s_delay_alu instid0(VALU_DEP_1) | instskip(SKIP_1) | instid1(VALU_DEP_2)
	v_and_or_b32 v1, 0x1ff, v27, v26
	v_lshrrev_b32_e32 v9, 8, v27
	v_cmp_ne_u32_e64 s3, 0, v1
	s_delay_alu instid0(VALU_DEP_1) | instskip(NEXT) | instid1(VALU_DEP_1)
	v_cndmask_b32_e64 v1, 0, 1, s3
	v_and_or_b32 v1, 0xffe, v9, v1
	v_bfe_u32 v9, v27, 20, 11
	s_delay_alu instid0(VALU_DEP_2) | instskip(NEXT) | instid1(VALU_DEP_2)
	v_or_b32_e32 v37, 0x1000, v1
	v_sub_nc_u32_e32 v26, 0x3f1, v9
	v_add_nc_u32_e32 v9, 0xfffffc10, v9
	s_delay_alu instid0(VALU_DEP_2) | instskip(NEXT) | instid1(VALU_DEP_1)
	v_med3_i32 v26, v26, 0, 13
	v_lshrrev_b32_e32 v38, v26, v37
	s_delay_alu instid0(VALU_DEP_1) | instskip(NEXT) | instid1(VALU_DEP_1)
	v_lshlrev_b32_e32 v26, v26, v38
	v_cmp_ne_u32_e64 s3, v26, v37
	v_lshl_or_b32 v37, v9, 12, v1
	s_delay_alu instid0(VALU_DEP_2) | instskip(SKIP_1) | instid1(VALU_DEP_2)
	v_cndmask_b32_e64 v26, 0, 1, s3
	v_cmp_gt_i32_e64 s3, 1, v9
	v_or_b32_e32 v26, v38, v26
	scratch_load_b32 v38, off, off offset:80 ; 4-byte Folded Reload
	v_cndmask_b32_e64 v26, v37, v26, s3
	s_delay_alu instid0(VALU_DEP_1) | instskip(SKIP_1) | instid1(VALU_DEP_2)
	v_and_b32_e32 v37, 7, v26
	v_lshrrev_b32_e32 v26, 2, v26
	v_cmp_lt_i32_e64 s3, 5, v37
	v_cmp_eq_u32_e64 s4, 3, v37
	v_cndmask_b32_e64 v37, 0, 1, s1
	v_cmp_ne_u32_e64 s1, 0, v1
	v_add_nc_u32_e32 v1, 0xfffffc10, v30
	s_delay_alu instid0(VALU_DEP_4) | instskip(NEXT) | instid1(VALU_DEP_3)
	s_or_b32 s3, s4, s3
	v_or_b32_e32 v31, v31, v37
	v_add_co_ci_u32_e64 v26, s3, 0, v26, s3
	s_delay_alu instid0(VALU_DEP_3) | instskip(SKIP_3) | instid1(VALU_DEP_3)
	v_lshl_or_b32 v30, v1, 12, v28
	v_cmp_gt_i32_e64 s5, 1, v1
	v_cmp_gt_i32_e64 s3, 31, v9
	v_cmp_ne_u32_e64 s4, 0, v28
	v_cndmask_b32_e64 v30, v30, v31, s5
	v_cndmask_b32_e64 v31, 0, 1, s1
	s_delay_alu instid0(VALU_DEP_4) | instskip(SKIP_2) | instid1(VALU_DEP_4)
	v_cndmask_b32_e64 v26, 0x7c00, v26, s3
	v_cmp_eq_u32_e64 s1, 0x40f, v9
	v_cndmask_b32_e64 v28, 0, 1, s4
	v_lshl_or_b32 v31, v31, 9, 0x7c00
	s_delay_alu instid0(VALU_DEP_2) | instskip(NEXT) | instid1(VALU_DEP_2)
	v_lshl_or_b32 v28, v28, 9, 0x7c00
	v_cndmask_b32_e64 v9, v26, v31, s1
	v_lshrrev_b32_e32 v26, 16, v27
	v_and_b32_e32 v27, 7, v30
	s_delay_alu instid0(VALU_DEP_2) | instskip(NEXT) | instid1(VALU_DEP_2)
	v_and_or_b32 v9, 0x8000, v26, v9
	v_cmp_lt_i32_e64 s1, 5, v27
	v_cmp_eq_u32_e64 s3, 3, v27
	v_lshrrev_b32_e32 v27, 2, v30
	s_delay_alu instid0(VALU_DEP_4) | instskip(NEXT) | instid1(VALU_DEP_3)
	v_and_b32_e32 v9, 0xffff, v9
	s_or_b32 s1, s3, s1
	s_delay_alu instid0(VALU_DEP_2) | instid1(SALU_CYCLE_1)
	v_add_co_ci_u32_e64 v27, s1, 0, v27, s1
	v_cmp_gt_i32_e64 s1, 31, v1
	s_delay_alu instid0(VALU_DEP_1) | instskip(SKIP_1) | instid1(VALU_DEP_1)
	v_cndmask_b32_e64 v27, 0x7c00, v27, s1
	v_cmp_eq_u32_e64 s1, 0x40f, v1
	v_cndmask_b32_e64 v1, v27, v28, s1
	v_add_co_u32 v26, s1, v23, s11
	s_delay_alu instid0(VALU_DEP_1) | instskip(NEXT) | instid1(VALU_DEP_3)
	v_add_co_ci_u32_e64 v27, s1, s10, v24, s1
	v_and_or_b32 v1, 0x8000, v22, v1
	s_delay_alu instid0(VALU_DEP_1) | instskip(SKIP_2) | instid1(VALU_DEP_1)
	v_lshl_or_b32 v1, v1, 16, v9
	global_store_b32 v[23:24], v1, off
	v_cvt_f32_f16_e32 v1, v36
	v_cvt_f64_f32_e32 v[22:23], v1
	s_delay_alu instid0(VALU_DEP_1) | instskip(NEXT) | instid1(VALU_DEP_1)
	v_mul_f64 v[23:24], v[22:23], s[6:7]
	v_and_or_b32 v1, 0x1ff, v24, v23
	v_lshrrev_b32_e32 v9, 8, v24
	v_bfe_u32 v30, v24, 20, 11
	s_delay_alu instid0(VALU_DEP_3) | instskip(NEXT) | instid1(VALU_DEP_1)
	v_cmp_ne_u32_e64 s1, 0, v1
	v_cndmask_b32_e64 v1, 0, 1, s1
	s_delay_alu instid0(VALU_DEP_1) | instskip(NEXT) | instid1(VALU_DEP_4)
	v_and_or_b32 v9, 0xffe, v9, v1
	v_sub_nc_u32_e32 v1, 0x3f1, v30
	v_add_nc_u32_e32 v30, 0xfffffc10, v30
	s_delay_alu instid0(VALU_DEP_3) | instskip(NEXT) | instid1(VALU_DEP_3)
	v_or_b32_e32 v22, 0x1000, v9
	v_med3_i32 v1, v1, 0, 13
	s_delay_alu instid0(VALU_DEP_1) | instskip(NEXT) | instid1(VALU_DEP_1)
	v_lshrrev_b32_e32 v36, v1, v22
	v_lshlrev_b32_e32 v1, v1, v36
	s_delay_alu instid0(VALU_DEP_1) | instskip(SKIP_1) | instid1(VALU_DEP_1)
	v_cmp_ne_u32_e64 s1, v1, v22
	v_mul_f16_e32 v1, v40, v29
	v_fmac_f16_e32 v1, v39, v16
	scratch_load_b32 v39, off, off offset:72 ; 4-byte Folded Reload
	v_cvt_f32_f16_e32 v1, v1
	s_delay_alu instid0(VALU_DEP_1) | instskip(NEXT) | instid1(VALU_DEP_1)
	v_cvt_f64_f32_e32 v[22:23], v1
	v_mul_f64 v[22:23], v[22:23], s[6:7]
	s_delay_alu instid0(VALU_DEP_1) | instskip(SKIP_1) | instid1(VALU_DEP_2)
	v_and_or_b32 v1, 0x1ff, v23, v22
	v_lshrrev_b32_e32 v16, 8, v23
	v_cmp_ne_u32_e64 s3, 0, v1
	s_delay_alu instid0(VALU_DEP_1) | instskip(NEXT) | instid1(VALU_DEP_1)
	v_cndmask_b32_e64 v1, 0, 1, s3
	v_and_or_b32 v1, 0xffe, v16, v1
	v_bfe_u32 v16, v23, 20, 11
	s_delay_alu instid0(VALU_DEP_2) | instskip(NEXT) | instid1(VALU_DEP_2)
	v_or_b32_e32 v28, 0x1000, v1
	v_sub_nc_u32_e32 v22, 0x3f1, v16
	v_add_nc_u32_e32 v16, 0xfffffc10, v16
	s_delay_alu instid0(VALU_DEP_2) | instskip(NEXT) | instid1(VALU_DEP_1)
	v_med3_i32 v22, v22, 0, 13
	v_lshrrev_b32_e32 v29, v22, v28
	s_delay_alu instid0(VALU_DEP_1) | instskip(NEXT) | instid1(VALU_DEP_1)
	v_lshlrev_b32_e32 v22, v22, v29
	v_cmp_ne_u32_e64 s3, v22, v28
	v_lshl_or_b32 v28, v16, 12, v1
	s_delay_alu instid0(VALU_DEP_2) | instskip(SKIP_1) | instid1(VALU_DEP_2)
	v_cndmask_b32_e64 v22, 0, 1, s3
	v_cmp_gt_i32_e64 s3, 1, v16
	v_or_b32_e32 v22, v29, v22
	s_delay_alu instid0(VALU_DEP_1) | instskip(NEXT) | instid1(VALU_DEP_1)
	v_cndmask_b32_e64 v22, v28, v22, s3
	v_and_b32_e32 v28, 7, v22
	v_lshrrev_b32_e32 v22, 2, v22
	s_delay_alu instid0(VALU_DEP_2)
	v_cmp_lt_i32_e64 s3, 5, v28
	v_cmp_eq_u32_e64 s4, 3, v28
	v_cndmask_b32_e64 v28, 0, 1, s2
	v_cmp_ne_u32_e64 s2, 0, v1
	v_add_nc_u32_e32 v1, 0xfffffc10, v32
	v_lshrrev_b32_e32 v32, 16, v13
	s_or_b32 s3, s4, s3
	v_or_b32_e32 v28, v34, v28
	v_add_co_ci_u32_e64 v22, s3, 0, v22, s3
	v_lshl_or_b32 v29, v1, 12, v33
	v_cmp_gt_i32_e64 s5, 1, v1
	v_cmp_gt_i32_e64 s3, 31, v16
	v_cmp_ne_u32_e64 s4, 0, v33
	s_clause 0x1
	scratch_load_b32 v34, off, off offset:92
	scratch_load_b32 v33, off, off offset:88
	v_cndmask_b32_e64 v28, v29, v28, s5
	v_cndmask_b32_e64 v29, 0, 1, s2
	;; [unrolled: 1-line block ×3, first 2 shown]
	v_cmp_eq_u32_e64 s2, 0x40f, v16
	s_delay_alu instid0(VALU_DEP_3) | instskip(NEXT) | instid1(VALU_DEP_1)
	v_lshl_or_b32 v29, v29, 9, 0x7c00
	v_cndmask_b32_e64 v16, v22, v29, s2
	v_lshrrev_b32_e32 v22, 16, v23
	v_and_b32_e32 v23, 7, v28
	s_delay_alu instid0(VALU_DEP_2) | instskip(NEXT) | instid1(VALU_DEP_2)
	v_and_or_b32 v16, 0x8000, v22, v16
	v_cmp_lt_i32_e64 s2, 5, v23
	v_cmp_eq_u32_e64 s3, 3, v23
	v_lshrrev_b32_e32 v23, 2, v28
	v_cndmask_b32_e64 v28, 0, 1, s4
	s_delay_alu instid0(VALU_DEP_3)
	s_or_b32 s2, s3, s2
	s_delay_alu instid0(VALU_DEP_2) | instid1(SALU_CYCLE_1)
	v_add_co_ci_u32_e64 v23, s2, 0, v23, s2
	v_cmp_gt_i32_e64 s2, 31, v1
	s_delay_alu instid0(VALU_DEP_3) | instskip(NEXT) | instid1(VALU_DEP_2)
	v_lshl_or_b32 v28, v28, 9, 0x7c00
	v_cndmask_b32_e64 v23, 0x7c00, v23, s2
	v_cmp_eq_u32_e64 s2, 0x40f, v1
	s_delay_alu instid0(VALU_DEP_1) | instskip(SKIP_2) | instid1(VALU_DEP_3)
	v_cndmask_b32_e64 v1, v23, v28, s2
	v_cvt_f64_f32_e32 v[22:23], v3
	v_and_b32_e32 v3, 0xffff, v16
	v_and_or_b32 v1, 0x8000, v12, v1
	s_delay_alu instid0(VALU_DEP_1) | instskip(SKIP_2) | instid1(VALU_DEP_1)
	v_lshl_or_b32 v1, v1, 16, v3
	global_store_b32 v[26:27], v1, off
	v_add_co_u32 v26, s2, v26, s11
	v_add_co_ci_u32_e64 v27, s2, s10, v27, s2
	v_mul_f64 v[28:29], v[22:23], s[6:7]
	s_delay_alu instid0(VALU_DEP_1) | instskip(SKIP_1) | instid1(VALU_DEP_2)
	v_and_or_b32 v1, 0x1ff, v29, v28
	v_lshrrev_b32_e32 v3, 8, v29
	v_cmp_ne_u32_e64 s2, 0, v1
	s_delay_alu instid0(VALU_DEP_1) | instskip(NEXT) | instid1(VALU_DEP_1)
	v_cndmask_b32_e64 v1, 0, 1, s2
	v_and_or_b32 v3, 0xffe, v3, v1
	v_bfe_u32 v1, v29, 20, 11
	s_delay_alu instid0(VALU_DEP_2) | instskip(NEXT) | instid1(VALU_DEP_2)
	v_or_b32_e32 v16, 0x1000, v3
	v_sub_nc_u32_e32 v12, 0x3f1, v1
	s_delay_alu instid0(VALU_DEP_1) | instskip(NEXT) | instid1(VALU_DEP_1)
	v_med3_i32 v12, v12, 0, 13
	v_lshrrev_b32_e32 v22, v12, v16
	s_delay_alu instid0(VALU_DEP_1) | instskip(NEXT) | instid1(VALU_DEP_1)
	v_lshlrev_b32_e32 v12, v12, v22
	v_cmp_ne_u32_e64 s2, v12, v16
	v_add_nc_u32_e32 v16, 0xfffffc10, v1
	s_delay_alu instid0(VALU_DEP_2) | instskip(NEXT) | instid1(VALU_DEP_2)
	v_cndmask_b32_e64 v12, 0, 1, s2
	v_lshl_or_b32 v1, v16, 12, v3
	v_cmp_gt_i32_e64 s2, 1, v16
	s_delay_alu instid0(VALU_DEP_3) | instskip(NEXT) | instid1(VALU_DEP_1)
	v_or_b32_e32 v12, v22, v12
	v_cndmask_b32_e64 v12, v1, v12, s2
	v_cvt_f32_f16_e32 v1, v35
	v_lshrrev_b32_e32 v35, 16, v8
	s_delay_alu instid0(VALU_DEP_2) | instskip(NEXT) | instid1(VALU_DEP_1)
	v_cvt_f64_f32_e32 v[22:23], v1
	v_mul_f64 v[22:23], v[22:23], s[6:7]
	s_delay_alu instid0(VALU_DEP_1) | instskip(SKIP_1) | instid1(VALU_DEP_2)
	v_and_or_b32 v1, 0x1ff, v23, v22
	v_lshrrev_b32_e32 v22, 8, v23
	v_cmp_ne_u32_e64 s2, 0, v1
	s_delay_alu instid0(VALU_DEP_1) | instskip(NEXT) | instid1(VALU_DEP_1)
	v_cndmask_b32_e64 v1, 0, 1, s2
	v_and_or_b32 v1, 0xffe, v22, v1
	v_and_b32_e32 v22, 7, v12
	v_lshrrev_b32_e32 v12, 2, v12
	s_delay_alu instid0(VALU_DEP_2) | instskip(SKIP_4) | instid1(VALU_DEP_4)
	v_cmp_lt_i32_e64 s2, 5, v22
	v_cmp_eq_u32_e64 s3, 3, v22
	v_cndmask_b32_e64 v22, 0, 1, vcc_lo
	v_cmp_ne_u32_e32 vcc_lo, 0, v3
	v_add_nc_u32_e32 v3, 0xfffffc10, v19
	s_or_b32 s2, s3, s2
	s_delay_alu instid0(VALU_DEP_3) | instskip(SKIP_1) | instid1(VALU_DEP_3)
	v_or_b32_e32 v22, v25, v22
	v_add_co_ci_u32_e64 v12, s2, 0, v12, s2
	v_lshl_or_b32 v19, v3, 12, v7
	v_cmp_gt_i32_e64 s4, 1, v3
	v_cmp_gt_i32_e64 s2, 31, v16
	s_delay_alu instid0(VALU_DEP_2) | instskip(SKIP_1) | instid1(VALU_DEP_3)
	v_cndmask_b32_e64 v19, v19, v22, s4
	v_cndmask_b32_e64 v22, 0, 1, vcc_lo
	v_cndmask_b32_e64 v12, 0x7c00, v12, s2
	v_cmp_eq_u32_e32 vcc_lo, 0x40f, v16
	s_delay_alu instid0(VALU_DEP_4) | instskip(NEXT) | instid1(VALU_DEP_4)
	v_and_b32_e32 v16, 7, v19
	v_lshl_or_b32 v22, v22, 9, 0x7c00
	v_lshrrev_b32_e32 v19, 2, v19
	s_delay_alu instid0(VALU_DEP_3) | instskip(NEXT) | instid1(VALU_DEP_3)
	v_cmp_eq_u32_e64 s2, 3, v16
	v_cndmask_b32_e32 v12, v12, v22, vcc_lo
	v_cmp_lt_i32_e32 vcc_lo, 5, v16
	v_lshrrev_b32_e32 v16, 16, v29
	s_delay_alu instid0(VALU_DEP_4) | instskip(NEXT) | instid1(VALU_DEP_1)
	s_or_b32 vcc_lo, s2, vcc_lo
	v_and_or_b32 v12, 0x8000, v16, v12
	v_add_co_ci_u32_e32 v19, vcc_lo, 0, v19, vcc_lo
	v_cmp_ne_u32_e32 vcc_lo, 0, v7
	v_or_b32_e32 v16, 0x1000, v1
	s_delay_alu instid0(VALU_DEP_4) | instskip(SKIP_2) | instid1(VALU_DEP_2)
	v_and_b32_e32 v12, 0xffff, v12
	v_cndmask_b32_e64 v7, 0, 1, vcc_lo
	v_cmp_gt_i32_e32 vcc_lo, 31, v3
	v_lshl_or_b32 v7, v7, 9, 0x7c00
	v_cndmask_b32_e32 v22, 0x7c00, v19, vcc_lo
	v_cmp_eq_u32_e32 vcc_lo, 0x40f, v3
	v_bfe_u32 v3, v23, 20, 11
	v_cvt_f64_f32_e32 v[19:20], v20
	s_delay_alu instid0(VALU_DEP_4) | instskip(NEXT) | instid1(VALU_DEP_3)
	v_cndmask_b32_e32 v7, v22, v7, vcc_lo
	v_sub_nc_u32_e32 v22, 0x3f1, v3
	v_add_nc_u32_e32 v3, 0xfffffc10, v3
	s_delay_alu instid0(VALU_DEP_3) | instskip(NEXT) | instid1(VALU_DEP_3)
	v_and_or_b32 v11, 0x8000, v11, v7
	v_med3_i32 v22, v22, 0, 13
	s_delay_alu instid0(VALU_DEP_2) | instskip(NEXT) | instid1(VALU_DEP_2)
	v_lshl_or_b32 v11, v11, 16, v12
	v_lshrrev_b32_e32 v7, v22, v16
	global_store_b32 v[26:27], v11, off
	v_lshlrev_b32_e32 v22, v22, v7
	v_add_co_u32 v26, s2, v26, s11
	s_delay_alu instid0(VALU_DEP_1) | instskip(NEXT) | instid1(VALU_DEP_3)
	v_add_co_ci_u32_e64 v27, s2, s10, v27, s2
	v_cmp_ne_u32_e32 vcc_lo, v22, v16
	scratch_load_b32 v22, off, off offset:100 ; 4-byte Folded Reload
	ds_load_2addr_stride64_b32 v[11:12], v58 offset0:44 offset1:46
	v_mul_f64 v[19:20], v[19:20], s[6:7]
	s_delay_alu instid0(VALU_DEP_1) | instskip(SKIP_1) | instid1(VALU_DEP_2)
	v_and_or_b32 v16, 0x1ff, v20, v19
	v_lshrrev_b32_e32 v19, 8, v20
	v_cmp_ne_u32_e64 s2, 0, v16
	s_delay_alu instid0(VALU_DEP_1) | instskip(NEXT) | instid1(VALU_DEP_1)
	v_cndmask_b32_e64 v16, 0, 1, s2
	v_and_or_b32 v31, 0xffe, v19, v16
	v_cndmask_b32_e64 v16, 0, 1, s0
	v_cmp_gt_i32_e64 s0, 1, v14
	s_delay_alu instid0(VALU_DEP_2) | instskip(SKIP_1) | instid1(VALU_DEP_1)
	v_or_b32_e32 v16, v18, v16
	v_lshl_or_b32 v18, v14, 12, v5
	v_cndmask_b32_e64 v16, v18, v16, s0
	s_waitcnt lgkmcnt(0)
	v_lshrrev_b32_e32 v18, 16, v11
	s_waitcnt vmcnt(0)
	v_mul_f16_e32 v19, v22, v11
	s_delay_alu instid0(VALU_DEP_2)
	v_mul_f16_e32 v25, v22, v18
	scratch_load_b32 v22, off, off offset:96 ; 4-byte Folded Reload
	s_waitcnt vmcnt(0)
	v_fmac_f16_e32 v25, v22, v11
	v_and_b32_e32 v11, 7, v16
	v_lshrrev_b32_e32 v16, 2, v16
	v_fma_f16 v18, v22, v18, -v19
	v_lshl_or_b32 v19, v30, 12, v9
	v_cvt_f32_f16_e32 v25, v25
	v_cmp_lt_i32_e64 s0, 5, v11
	v_cmp_eq_u32_e64 s2, 3, v11
	v_cndmask_b32_e64 v11, 0, 1, s1
	v_cvt_f32_f16_e32 v18, v18
	s_delay_alu instid0(VALU_DEP_3) | instskip(NEXT) | instid1(VALU_DEP_2)
	s_or_b32 s0, s2, s0
	v_or_b32_e32 v11, v36, v11
	v_add_co_ci_u32_e64 v16, s0, 0, v16, s0
	v_cmp_ne_u32_e64 s0, 0, v5
	s_delay_alu instid0(VALU_DEP_1) | instskip(SKIP_1) | instid1(VALU_DEP_2)
	v_cndmask_b32_e64 v5, 0, 1, s0
	v_cmp_gt_i32_e64 s0, 1, v30
	v_lshl_or_b32 v5, v5, 9, 0x7c00
	s_delay_alu instid0(VALU_DEP_2) | instskip(SKIP_2) | instid1(VALU_DEP_2)
	v_cndmask_b32_e64 v11, v19, v11, s0
	v_cmp_gt_i32_e64 s0, 31, v14
	v_cvt_f64_f32_e32 v[18:19], v18
	v_cndmask_b32_e64 v16, 0x7c00, v16, s0
	v_cmp_eq_u32_e64 s0, 0x40f, v14
	v_and_b32_e32 v14, 7, v11
	v_lshrrev_b32_e32 v11, 2, v11
	s_delay_alu instid0(VALU_DEP_3) | instskip(NEXT) | instid1(VALU_DEP_3)
	v_cndmask_b32_e64 v5, v16, v5, s0
	v_cmp_lt_i32_e64 s0, 5, v14
	v_cmp_eq_u32_e64 s1, 3, v14
	v_mul_f16_e32 v14, v34, v32
	v_lshrrev_b32_e32 v16, 16, v21
	s_delay_alu instid0(VALU_DEP_3) | instskip(NEXT) | instid1(VALU_DEP_2)
	s_or_b32 s0, s1, s0
	v_fmac_f16_e32 v14, v33, v13
	v_add_co_ci_u32_e64 v11, s0, 0, v11, s0
	v_cmp_ne_u32_e64 s0, 0, v9
	v_and_or_b32 v5, 0x8000, v16, v5
	s_delay_alu instid0(VALU_DEP_4)
	v_cvt_f32_f16_e32 v14, v14
	v_mul_f16_e32 v13, v34, v13
	scratch_load_b32 v34, off, off offset:84 ; 4-byte Folded Reload
	v_cndmask_b32_e64 v9, 0, 1, s0
	v_cmp_gt_i32_e64 s0, 31, v30
	v_cvt_f64_f32_e32 v[28:29], v14
	v_bfe_u32 v14, v20, 20, 11
	v_and_b32_e32 v5, 0xffff, v5
	v_lshl_or_b32 v9, v9, 9, 0x7c00
	v_cndmask_b32_e64 v11, 0x7c00, v11, s0
	v_cmp_eq_u32_e64 s0, 0x40f, v30
	v_or_b32_e32 v30, 0x1000, v31
	v_mul_f64 v[21:22], v[18:19], s[6:7]
	s_delay_alu instid0(VALU_DEP_3) | instskip(SKIP_1) | instid1(VALU_DEP_1)
	v_cndmask_b32_e64 v9, v11, v9, s0
	v_sub_nc_u32_e32 v11, 0x3f1, v14
	v_med3_i32 v11, v11, 0, 13
	v_mul_f64 v[18:19], v[28:29], s[6:7]
	v_lshrrev_b32_e32 v28, 16, v24
	v_cvt_f64_f32_e32 v[24:25], v25
	s_delay_alu instid0(VALU_DEP_2) | instskip(SKIP_2) | instid1(VALU_DEP_3)
	v_and_or_b32 v9, 0x8000, v28, v9
	v_and_or_b32 v16, 0x1ff, v22, v21
	v_lshrrev_b32_e32 v21, v11, v30
	v_lshl_or_b32 v5, v9, 16, v5
	v_bfe_u32 v29, v22, 20, 11
	s_delay_alu instid0(VALU_DEP_4)
	v_cmp_ne_u32_e64 s0, 0, v16
	v_lshrrev_b32_e32 v16, 8, v22
	v_lshlrev_b32_e32 v11, v11, v21
	global_store_b32 v[26:27], v5, off
	v_cndmask_b32_e64 v9, 0, 1, s0
	v_add_co_u32 v26, s0, v26, s11
	v_cmp_ne_u32_e64 s2, v11, v30
	v_fma_f16 v11, v33, v32, -v13
	s_delay_alu instid0(VALU_DEP_4) | instskip(SKIP_2) | instid1(VALU_DEP_4)
	v_and_or_b32 v16, 0xffe, v16, v9
	v_sub_nc_u32_e32 v9, 0x3f1, v29
	v_add_co_ci_u32_e64 v27, s0, s10, v27, s0
	v_cvt_f32_f16_e32 v11, v11
	v_add_nc_u32_e32 v29, 0xfffffc10, v29
	s_delay_alu instid0(VALU_DEP_4) | instskip(SKIP_1) | instid1(VALU_DEP_1)
	v_med3_i32 v5, v9, 0, 13
	v_or_b32_e32 v9, 0x1000, v16
	v_lshrrev_b32_e32 v30, v5, v9
	v_and_or_b32 v13, 0x1ff, v19, v18
	v_lshrrev_b32_e32 v28, 8, v19
	v_bfe_u32 v18, v19, 20, 11
	v_mul_f64 v[24:25], v[24:25], s[6:7]
	v_lshlrev_b32_e32 v32, v5, v30
	v_cmp_ne_u32_e64 s0, 0, v13
	s_delay_alu instid0(VALU_DEP_2) | instskip(NEXT) | instid1(VALU_DEP_2)
	v_cmp_ne_u32_e64 s1, v32, v9
	v_cndmask_b32_e64 v13, 0, 1, s0
	s_delay_alu instid0(VALU_DEP_1) | instskip(SKIP_2) | instid1(VALU_DEP_2)
	v_and_or_b32 v5, 0xffe, v28, v13
	v_sub_nc_u32_e32 v13, 0x3f1, v18
	v_add_nc_u32_e32 v18, 0xfffffc10, v18
	v_med3_i32 v9, v13, 0, 13
	s_delay_alu instid0(VALU_DEP_4) | instskip(NEXT) | instid1(VALU_DEP_1)
	v_or_b32_e32 v13, 0x1000, v5
	v_lshrrev_b32_e32 v28, v9, v13
	s_delay_alu instid0(VALU_DEP_1) | instskip(NEXT) | instid1(VALU_DEP_1)
	v_lshlrev_b32_e32 v9, v9, v28
	v_cmp_ne_u32_e64 s0, v9, v13
	scratch_load_b32 v9, off, off offset:76 ; 4-byte Folded Reload
	s_waitcnt vmcnt(0)
	v_mul_f16_e32 v33, v9, v35
	v_mul_f16_e32 v36, v9, v8
	v_lshrrev_b32_e32 v9, 8, v25
	s_delay_alu instid0(VALU_DEP_3) | instskip(SKIP_1) | instid1(VALU_DEP_1)
	v_fmac_f16_e32 v33, v39, v8
	v_and_or_b32 v8, 0x1ff, v25, v24
	v_cmp_ne_u32_e64 s3, 0, v8
	s_delay_alu instid0(VALU_DEP_1) | instskip(NEXT) | instid1(VALU_DEP_1)
	v_cndmask_b32_e64 v8, 0, 1, s3
	v_and_or_b32 v37, 0xffe, v9, v8
	v_cvt_f64_f32_e32 v[8:9], v11
	s_delay_alu instid0(VALU_DEP_1) | instskip(NEXT) | instid1(VALU_DEP_1)
	v_mul_f64 v[8:9], v[8:9], s[6:7]
	v_and_or_b32 v8, 0x1ff, v9, v8
	v_lshrrev_b32_e32 v11, 8, v9
	s_delay_alu instid0(VALU_DEP_2) | instskip(NEXT) | instid1(VALU_DEP_1)
	v_cmp_ne_u32_e64 s3, 0, v8
	v_cndmask_b32_e64 v8, 0, 1, s3
	s_delay_alu instid0(VALU_DEP_1) | instskip(SKIP_2) | instid1(VALU_DEP_2)
	v_and_or_b32 v11, 0xffe, v11, v8
	v_cndmask_b32_e64 v8, 0, 1, vcc_lo
	v_cmp_gt_i32_e32 vcc_lo, 1, v3
	v_or_b32_e32 v7, v7, v8
	v_lshl_or_b32 v8, v3, 12, v1
	s_delay_alu instid0(VALU_DEP_1) | instskip(SKIP_4) | instid1(VALU_DEP_2)
	v_cndmask_b32_e32 v13, v8, v7, vcc_lo
	ds_load_2addr_stride64_b32 v[7:8], v58 offset0:56 offset1:58
	s_waitcnt lgkmcnt(0)
	v_lshrrev_b32_e32 v24, 16, v7
	v_mul_f16_e32 v32, v34, v7
	v_mul_f16_e32 v34, v34, v24
	s_delay_alu instid0(VALU_DEP_2) | instskip(NEXT) | instid1(VALU_DEP_2)
	v_fma_f16 v24, v38, v24, -v32
	v_fmac_f16_e32 v34, v38, v7
	v_and_b32_e32 v7, 7, v13
	v_lshrrev_b32_e32 v13, 2, v13
	s_delay_alu instid0(VALU_DEP_4)
	v_cvt_f32_f16_e32 v24, v24
	v_bfe_u32 v38, v25, 20, 11
	v_lshrrev_b32_e32 v25, 16, v25
	v_cmp_lt_i32_e32 vcc_lo, 5, v7
	v_cmp_eq_u32_e64 s3, 3, v7
	v_cndmask_b32_e64 v7, 0, 1, s2
	v_cmp_ne_u32_e64 s2, 0, v1
	v_add_nc_u32_e32 v1, 0xfffffc10, v14
	s_delay_alu instid0(VALU_DEP_4) | instskip(NEXT) | instid1(VALU_DEP_3)
	s_or_b32 vcc_lo, s3, vcc_lo
	v_or_b32_e32 v7, v21, v7
	v_add_co_ci_u32_e32 v13, vcc_lo, 0, v13, vcc_lo
	s_delay_alu instid0(VALU_DEP_3) | instskip(SKIP_3) | instid1(VALU_DEP_3)
	v_lshl_or_b32 v14, v1, 12, v31
	v_cmp_gt_i32_e64 s4, 1, v1
	v_cmp_gt_i32_e32 vcc_lo, 31, v3
	v_lshrrev_b32_e32 v21, 16, v23
	v_cndmask_b32_e64 v7, v14, v7, s4
	v_cndmask_b32_e64 v14, 0, 1, s2
	v_cndmask_b32_e32 v13, 0x7c00, v13, vcc_lo
	v_cmp_eq_u32_e32 vcc_lo, 0x40f, v3
	s_delay_alu instid0(VALU_DEP_3) | instskip(NEXT) | instid1(VALU_DEP_1)
	v_lshl_or_b32 v14, v14, 9, 0x7c00
	v_cndmask_b32_e32 v3, v13, v14, vcc_lo
	v_and_b32_e32 v13, 7, v7
	v_lshrrev_b32_e32 v7, 2, v7
	s_delay_alu instid0(VALU_DEP_3) | instskip(NEXT) | instid1(VALU_DEP_3)
	v_and_or_b32 v3, 0x8000, v21, v3
	v_cmp_lt_i32_e32 vcc_lo, 5, v13
	v_cmp_eq_u32_e64 s2, 3, v13
	v_cvt_f32_f16_e32 v13, v34
	s_delay_alu instid0(VALU_DEP_4) | instskip(NEXT) | instid1(VALU_DEP_3)
	v_and_b32_e32 v3, 0xffff, v3
	s_or_b32 vcc_lo, s2, vcc_lo
	s_delay_alu instid0(VALU_DEP_2)
	v_cvt_f64_f32_e32 v[13:14], v13
	v_add_co_ci_u32_e32 v7, vcc_lo, 0, v7, vcc_lo
	v_cmp_ne_u32_e32 vcc_lo, 0, v31
	v_cvt_f64_f32_e32 v[31:32], v24
	v_cndmask_b32_e64 v23, 0, 1, vcc_lo
	v_cmp_gt_i32_e32 vcc_lo, 31, v1
	s_delay_alu instid0(VALU_DEP_2) | instskip(SKIP_3) | instid1(VALU_DEP_3)
	v_lshl_or_b32 v23, v23, 9, 0x7c00
	v_cndmask_b32_e32 v7, 0x7c00, v7, vcc_lo
	v_cmp_eq_u32_e32 vcc_lo, 0x40f, v1
	v_cvt_f32_f16_e32 v1, v33
	v_cndmask_b32_e32 v7, v7, v23, vcc_lo
	s_delay_alu instid0(VALU_DEP_2) | instskip(SKIP_1) | instid1(VALU_DEP_1)
	v_cvt_f64_f32_e32 v[33:34], v1
	v_lshrrev_b32_e32 v1, 16, v20
	v_and_or_b32 v1, 0x8000, v1, v7
	v_or_b32_e32 v7, 0x1000, v37
	s_delay_alu instid0(VALU_DEP_2)
	v_lshl_or_b32 v1, v1, 16, v3
	global_store_b32 v[26:27], v1, off
	v_mul_f64 v[23:24], v[13:14], s[6:7]
	v_sub_nc_u32_e32 v13, 0x3f1, v38
	v_add_co_u32 v26, vcc_lo, v26, s11
	v_mul_f64 v[20:21], v[31:32], s[6:7]
	v_fma_f16 v32, v39, v35, -v36
	s_delay_alu instid0(VALU_DEP_4) | instskip(SKIP_4) | instid1(VALU_DEP_1)
	v_med3_i32 v31, v13, 0, 13
	scratch_load_b32 v35, off, off offset:68 ; 4-byte Folded Reload
	v_add_co_ci_u32_e32 v27, vcc_lo, s10, v27, vcc_lo
	v_lshrrev_b32_e32 v1, 16, v15
	v_lshrrev_b32_e32 v3, v31, v7
	v_lshlrev_b32_e32 v31, v31, v3
	s_delay_alu instid0(VALU_DEP_1)
	v_cmp_ne_u32_e32 vcc_lo, v31, v7
	v_add_nc_u32_e32 v31, 0xfffffc10, v38
	scratch_load_b32 v38, off, off offset:64 ; 4-byte Folded Reload
	v_mul_f64 v[13:14], v[33:34], s[6:7]
	v_bfe_u32 v33, v9, 20, 11
	v_lshrrev_b32_e32 v9, 16, v9
	v_and_or_b32 v7, 0x1ff, v24, v23
	v_cndmask_b32_e64 v23, 0, 1, vcc_lo
	v_and_or_b32 v20, 0x1ff, v21, v20
	s_delay_alu instid0(VALU_DEP_3) | instskip(NEXT) | instid1(VALU_DEP_3)
	v_cmp_ne_u32_e32 vcc_lo, 0, v7
	v_or_b32_e32 v3, v3, v23
	v_lshl_or_b32 v23, v31, 12, v37
	v_cndmask_b32_e64 v7, 0, 1, vcc_lo
	v_cmp_gt_i32_e32 vcc_lo, 1, v31
	s_delay_alu instid0(VALU_DEP_3) | instskip(SKIP_2) | instid1(VALU_DEP_2)
	v_cndmask_b32_e32 v23, v23, v3, vcc_lo
	v_lshrrev_b32_e32 v3, 8, v24
	v_cmp_ne_u32_e32 vcc_lo, 0, v20
	v_and_or_b32 v20, 0xffe, v3, v7
	v_cndmask_b32_e64 v36, 0, 1, vcc_lo
	v_and_or_b32 v13, 0x1ff, v14, v13
	v_and_b32_e32 v7, 7, v23
	v_lshrrev_b32_e32 v23, 2, v23
	v_bfe_u32 v40, v14, 20, 11
	s_delay_alu instid0(VALU_DEP_4) | instskip(SKIP_2) | instid1(VALU_DEP_2)
	v_cmp_ne_u32_e32 vcc_lo, 0, v13
	v_cndmask_b32_e64 v13, 0, 1, s1
	v_cmp_eq_u32_e64 s1, 3, v7
	v_or_b32_e32 v13, v30, v13
	v_lshl_or_b32 v30, v29, 12, v16
	s_waitcnt vmcnt(1)
	v_mul_f16_e32 v34, v35, v1
	v_mul_f16_e32 v35, v35, v15
	s_waitcnt vmcnt(0)
	s_delay_alu instid0(VALU_DEP_1)
	v_fma_f16 v35, v38, v1, -v35
	v_lshrrev_b32_e32 v1, 8, v21
	v_fmac_f16_e32 v34, v38, v15
	v_sub_nc_u32_e32 v15, 0x3f1, v33
	v_add_nc_u32_e32 v33, 0xfffffc10, v33
	v_or_b32_e32 v38, 0x1000, v20
	v_and_or_b32 v3, 0xffe, v1, v36
	v_cndmask_b32_e64 v1, 0, 1, vcc_lo
	v_cmp_lt_i32_e32 vcc_lo, 5, v7
	v_med3_i32 v15, v15, 0, 13
	v_lshrrev_b32_e32 v7, 8, v14
	v_lshrrev_b32_e32 v14, 16, v14
	s_or_b32 vcc_lo, s1, vcc_lo
	v_add_co_ci_u32_e32 v23, vcc_lo, 0, v23, vcc_lo
	v_cmp_ne_u32_e32 vcc_lo, 0, v37
	v_and_or_b32 v1, 0xffe, v7, v1
	v_bfe_u32 v7, v24, 20, 11
	v_lshrrev_b32_e32 v24, 16, v24
	v_cndmask_b32_e64 v36, 0, 1, vcc_lo
	v_cmp_gt_i32_e32 vcc_lo, 1, v29
	s_delay_alu instid0(VALU_DEP_4) | instskip(SKIP_1) | instid1(VALU_DEP_4)
	v_sub_nc_u32_e32 v37, 0x3f1, v7
	v_or_b32_e32 v43, 0x1000, v1
	v_lshl_or_b32 v36, v36, 9, 0x7c00
	v_cndmask_b32_e32 v13, v30, v13, vcc_lo
	v_cmp_gt_i32_e32 vcc_lo, 31, v31
	v_or_b32_e32 v30, 0x1000, v11
	v_med3_i32 v37, v37, 0, 13
	v_cndmask_b32_e32 v23, 0x7c00, v23, vcc_lo
	v_cmp_eq_u32_e32 vcc_lo, 0x40f, v31
	v_and_b32_e32 v31, 7, v13
	v_lshrrev_b32_e32 v13, 2, v13
	v_lshrrev_b32_e32 v39, v37, v38
	v_cndmask_b32_e32 v23, v23, v36, vcc_lo
	s_delay_alu instid0(VALU_DEP_4)
	v_cmp_lt_i32_e32 vcc_lo, 5, v31
	v_cmp_eq_u32_e64 s1, 3, v31
	v_cndmask_b32_e64 v31, 0, 1, s0
	v_lshrrev_b32_e32 v36, v15, v30
	v_and_or_b32 v25, 0x8000, v25, v23
	v_lshlrev_b32_e32 v37, v37, v39
	s_or_b32 vcc_lo, s1, vcc_lo
	v_or_b32_e32 v28, v28, v31
	v_add_co_ci_u32_e32 v13, vcc_lo, 0, v13, vcc_lo
	v_cmp_ne_u32_e32 vcc_lo, 0, v16
	v_lshl_or_b32 v31, v18, 12, v5
	v_lshlrev_b32_e32 v15, v15, v36
	v_cndmask_b32_e64 v16, 0, 1, vcc_lo
	v_cmp_gt_i32_e32 vcc_lo, 1, v18
	s_delay_alu instid0(VALU_DEP_4)
	v_cndmask_b32_e32 v28, v31, v28, vcc_lo
	v_cmp_gt_i32_e32 vcc_lo, 31, v29
	v_cvt_f32_f16_e32 v31, v32
	v_lshl_or_b32 v32, v16, 9, 0x7c00
	v_cndmask_b32_e32 v13, 0x7c00, v13, vcc_lo
	v_cmp_ne_u32_e32 vcc_lo, v15, v30
	s_delay_alu instid0(VALU_DEP_4)
	v_cvt_f64_f32_e32 v[15:16], v31
	v_lshrrev_b32_e32 v31, 16, v22
	v_cvt_f32_f16_e32 v22, v34
	v_lshrrev_b32_e32 v34, 16, v6
	v_cndmask_b32_e64 v30, 0, 1, vcc_lo
	v_cmp_eq_u32_e32 vcc_lo, 0x40f, v29
	s_delay_alu instid0(VALU_DEP_4) | instskip(NEXT) | instid1(VALU_DEP_3)
	v_cvt_f64_f32_e32 v[22:23], v22
	v_or_b32_e32 v29, v36, v30
	v_cndmask_b32_e32 v13, v13, v32, vcc_lo
	v_lshl_or_b32 v30, v33, 12, v11
	v_and_b32_e32 v32, 7, v28
	v_cmp_gt_i32_e32 vcc_lo, 1, v33
	v_lshrrev_b32_e32 v28, 2, v28
	v_and_or_b32 v13, 0x8000, v31, v13
	v_mul_f16_e32 v31, v45, v34
	v_cmp_eq_u32_e64 s0, 3, v32
	v_cndmask_b32_e32 v30, v30, v29, vcc_lo
	v_cmp_lt_i32_e32 vcc_lo, 5, v32
	v_cvt_f32_f16_e32 v32, v35
	v_fmac_f16_e32 v31, v46, v6
	v_bfe_u32 v36, v21, 20, 11
	v_and_b32_e32 v29, 7, v30
	s_or_b32 vcc_lo, s0, vcc_lo
	v_cmp_eq_u32_e64 s0, 0x40f, v18
	v_add_co_ci_u32_e32 v28, vcc_lo, 0, v28, vcc_lo
	v_cmp_ne_u32_e32 vcc_lo, 0, v5
	v_cmp_lt_i32_e64 s1, 5, v29
	v_mul_f16_e32 v6, v45, v6
	v_lshrrev_b32_e32 v21, 16, v21
	v_cndmask_b32_e64 v5, 0, 1, vcc_lo
	v_cmp_gt_i32_e32 vcc_lo, 31, v18
	v_lshrrev_b32_e32 v18, 2, v30
	v_fma_f16 v6, v46, v34, -v6
	s_delay_alu instid0(VALU_DEP_4)
	v_lshl_or_b32 v5, v5, 9, 0x7c00
	v_cndmask_b32_e32 v35, 0x7c00, v28, vcc_lo
	v_cmp_eq_u32_e32 vcc_lo, 3, v29
	v_cvt_f64_f32_e32 v[28:29], v32
	v_cvt_f32_f16_e32 v32, v31
	v_mul_f64 v[30:31], v[15:16], s[6:7]
	v_cndmask_b32_e64 v5, v35, v5, s0
	s_or_b32 vcc_lo, vcc_lo, s1
	v_lshrrev_b32_e32 v35, 16, v19
	v_add_co_ci_u32_e32 v18, vcc_lo, 0, v18, vcc_lo
	v_cmp_ne_u32_e32 vcc_lo, 0, v11
	v_cvt_f64_f32_e32 v[15:16], v32
	s_delay_alu instid0(VALU_DEP_4)
	v_and_or_b32 v5, 0x8000, v35, v5
	v_sub_nc_u32_e32 v32, 0x3f1, v36
	v_add_nc_u32_e32 v36, 0xfffffc10, v36
	v_cndmask_b32_e64 v11, 0, 1, vcc_lo
	v_cmp_gt_i32_e32 vcc_lo, 31, v33
	v_and_b32_e32 v5, 0xffff, v5
	v_med3_i32 v42, v32, 0, 13
	v_cvt_f32_f16_e32 v6, v6
	v_lshl_or_b32 v11, v11, 9, 0x7c00
	v_cndmask_b32_e32 v41, 0x7c00, v18, vcc_lo
	v_cmp_eq_u32_e32 vcc_lo, 0x40f, v33
	v_mul_f64 v[18:19], v[22:23], s[6:7]
	v_and_b32_e32 v23, 0xffff, v25
	v_sub_nc_u32_e32 v22, 0x3f1, v40
	v_dual_cndmask_b32 v11, v41, v11 :: v_dual_add_nc_u32 v40, 0xfffffc10, v40
	v_add_co_u32 v32, vcc_lo, v26, s11
	s_delay_alu instid0(VALU_DEP_4) | instskip(SKIP_1) | instid1(VALU_DEP_4)
	v_lshl_or_b32 v13, v13, 16, v23
	v_add_co_ci_u32_e32 v33, vcc_lo, s10, v27, vcc_lo
	v_and_or_b32 v9, 0x8000, v9, v11
	v_med3_i32 v35, v22, 0, 13
	v_add_co_u32 v25, vcc_lo, v32, s11
	v_or_b32_e32 v41, 0x1000, v3
	s_delay_alu instid0(VALU_DEP_4)
	v_lshl_or_b32 v5, v9, 16, v5
	global_store_b32 v[26:27], v13, off
	global_store_b32 v[32:33], v5, off
	v_mul_f64 v[22:23], v[28:29], s[6:7]
	s_clause 0x1
	scratch_load_b32 v28, off, off offset:52
	scratch_load_b32 v46, off, off offset:48
	v_and_or_b32 v5, 0x1ff, v31, v30
	v_add_co_ci_u32_e32 v26, vcc_lo, s10, v33, vcc_lo
	v_mul_f64 v[15:16], v[15:16], s[6:7]
	v_lshrrev_b32_e32 v11, 8, v31
	s_delay_alu instid0(VALU_DEP_4)
	v_cmp_ne_u32_e32 vcc_lo, 0, v5
	v_lshrrev_b32_e32 v44, v35, v43
	v_lshrrev_b32_e32 v27, 16, v17
	v_bfe_u32 v30, v31, 20, 11
	v_lshrrev_b32_e32 v9, v42, v41
	v_cndmask_b32_e64 v5, 0, 1, vcc_lo
	v_lshlrev_b32_e32 v34, v35, v44
	v_cmp_gt_i32_e64 s1, 31, v40
	v_sub_nc_u32_e32 v13, 0x3f1, v30
	v_lshlrev_b32_e32 v33, v42, v9
	v_and_or_b32 v18, 0x1ff, v19, v18
	v_and_or_b32 v45, 0xffe, v11, v5
	v_add_nc_u32_e32 v30, 0xfffffc10, v30
	v_med3_i32 v5, v13, 0, 13
	v_bfe_u32 v13, v19, 20, 11
	v_cmp_ne_u32_e32 vcc_lo, 0, v18
	v_lshrrev_b32_e32 v18, 8, v19
	v_lshrrev_b32_e32 v19, 16, v19
	s_delay_alu instid0(VALU_DEP_4) | instskip(SKIP_3) | instid1(VALU_DEP_4)
	v_sub_nc_u32_e32 v29, 0x3f1, v13
	v_cndmask_b32_e64 v11, 0, 1, vcc_lo
	v_cmp_ne_u32_e32 vcc_lo, v37, v38
	v_add_nc_u32_e32 v37, 0xfffffc10, v7
	v_med3_i32 v29, v29, 0, 13
	s_delay_alu instid0(VALU_DEP_4) | instskip(SKIP_2) | instid1(VALU_DEP_3)
	v_and_or_b32 v11, 0xffe, v18, v11
	v_cndmask_b32_e64 v35, 0, 1, vcc_lo
	v_and_or_b32 v7, 0x1ff, v23, v22
	v_or_b32_e32 v22, 0x1000, v11
	s_delay_alu instid0(VALU_DEP_2)
	v_cmp_ne_u32_e32 vcc_lo, 0, v7
	v_and_or_b32 v15, 0x1ff, v16, v15
	v_cndmask_b32_e64 v7, 0, 1, vcc_lo
	v_cmp_gt_i32_e32 vcc_lo, 1, v37
	s_waitcnt vmcnt(1)
	v_mul_f16_e32 v32, v28, v27
	v_mul_f16_e32 v28, v28, v17
	s_waitcnt vmcnt(0)
	s_delay_alu instid0(VALU_DEP_2) | instskip(NEXT) | instid1(VALU_DEP_2)
	v_fmac_f16_e32 v32, v46, v17
	v_fma_f16 v38, v46, v27, -v28
	v_or_b32_e32 v27, v39, v35
	v_lshl_or_b32 v28, v37, 12, v20
	v_or_b32_e32 v17, 0x1000, v45
	v_cvt_f32_f16_e32 v32, v32
	s_delay_alu instid0(VALU_DEP_3) | instskip(SKIP_1) | instid1(VALU_DEP_4)
	v_cndmask_b32_e32 v35, v28, v27, vcc_lo
	v_cmp_ne_u32_e32 vcc_lo, 0, v15
	v_lshrrev_b32_e32 v18, v5, v17
	v_lshrrev_b32_e32 v27, 8, v23
	s_delay_alu instid0(VALU_DEP_4)
	v_and_b32_e32 v39, 7, v35
	v_cndmask_b32_e64 v28, 0, 1, vcc_lo
	v_cmp_ne_u32_e32 vcc_lo, v33, v41
	v_lshrrev_b32_e32 v33, 8, v16
	v_lshlrev_b32_e32 v41, v5, v18
	v_cmp_lt_i32_e64 s0, 5, v39
	v_and_or_b32 v15, 0xffe, v27, v7
	v_cndmask_b32_e64 v5, 0, 1, vcc_lo
	v_cmp_eq_u32_e32 vcc_lo, 3, v39
	v_and_or_b32 v7, 0xffe, v33, v28
	v_lshrrev_b32_e32 v33, 2, v35
	v_bfe_u32 v28, v23, 20, 11
	v_or_b32_e32 v5, v9, v5
	s_or_b32 vcc_lo, vcc_lo, s0
	v_lshl_or_b32 v9, v36, 12, v3
	v_add_co_ci_u32_e32 v33, vcc_lo, 0, v33, vcc_lo
	v_cmp_ne_u32_e32 vcc_lo, 0, v20
	v_lshrrev_b32_e32 v27, v29, v22
	v_cndmask_b32_e64 v20, 0, 1, vcc_lo
	v_cmp_gt_i32_e32 vcc_lo, 1, v36
	s_delay_alu instid0(VALU_DEP_2)
	v_lshl_or_b32 v35, v20, 9, 0x7c00
	v_cndmask_b32_e32 v5, v9, v5, vcc_lo
	v_cmp_gt_i32_e32 vcc_lo, 31, v37
	v_sub_nc_u32_e32 v9, 0x3f1, v28
	v_lshlrev_b32_e32 v20, v29, v27
	v_or_b32_e32 v29, 0x1000, v15
	v_add_nc_u32_e32 v28, 0xfffffc10, v28
	v_cndmask_b32_e32 v33, 0x7c00, v33, vcc_lo
	v_cmp_eq_u32_e32 vcc_lo, 0x40f, v37
	v_and_b32_e32 v37, 7, v5
	v_lshrrev_b32_e32 v5, 2, v5
	v_med3_i32 v39, v9, 0, 13
	v_bfe_u32 v9, v16, 20, 11
	v_cndmask_b32_e32 v35, v33, v35, vcc_lo
	v_cmp_lt_i32_e32 vcc_lo, 5, v37
	v_cmp_eq_u32_e64 s0, 3, v37
	v_lshrrev_b32_e32 v16, 16, v16
	v_sub_nc_u32_e32 v33, 0x3f1, v9
	v_and_or_b32 v24, 0x8000, v24, v35
	v_add_nc_u32_e32 v9, 0xfffffc10, v9
	s_or_b32 vcc_lo, s0, vcc_lo
	v_cmp_gt_i32_e64 s0, 1, v30
	v_add_co_ci_u32_e32 v37, vcc_lo, 0, v5, vcc_lo
	v_cmp_ne_u32_e32 vcc_lo, v34, v43
	v_med3_i32 v42, v33, 0, 13
	v_cvt_f64_f32_e32 v[5:6], v6
	v_cndmask_b32_e64 v34, 0, 1, vcc_lo
	v_cmp_gt_i32_e32 vcc_lo, 31, v36
	s_delay_alu instid0(VALU_DEP_2)
	v_or_b32_e32 v33, v44, v34
	v_cndmask_b32_e32 v37, 0x7c00, v37, vcc_lo
	v_cmp_ne_u32_e32 vcc_lo, 0, v3
	v_lshl_or_b32 v34, v40, 12, v1
	v_cndmask_b32_e64 v3, 0, 1, vcc_lo
	v_cmp_gt_i32_e32 vcc_lo, 1, v40
	s_delay_alu instid0(VALU_DEP_2) | instskip(NEXT) | instid1(VALU_DEP_4)
	v_lshl_or_b32 v3, v3, 9, 0x7c00
	v_cndmask_b32_e32 v34, v34, v33, vcc_lo
	v_cmp_ne_u32_e32 vcc_lo, v41, v17
	v_cvt_f64_f32_e32 v[32:33], v32
	s_delay_alu instid0(VALU_DEP_3) | instskip(SKIP_3) | instid1(VALU_DEP_3)
	v_and_b32_e32 v41, 7, v34
	v_cndmask_b32_e64 v17, 0, 1, vcc_lo
	v_cmp_eq_u32_e32 vcc_lo, 0x40f, v36
	v_or_b32_e32 v36, 0x1000, v7
	v_or_b32_e32 v17, v18, v17
	v_lshl_or_b32 v18, v30, 12, v45
	v_cndmask_b32_e32 v3, v37, v3, vcc_lo
	v_cmp_lt_i32_e32 vcc_lo, 5, v41
	s_delay_alu instid0(VALU_DEP_3) | instskip(SKIP_3) | instid1(VALU_DEP_4)
	v_cndmask_b32_e64 v17, v18, v17, s0
	v_cmp_eq_u32_e64 s0, 3, v41
	v_lshrrev_b32_e32 v18, 2, v34
	v_and_or_b32 v3, 0x8000, v21, v3
	v_and_b32_e32 v34, 7, v17
	s_delay_alu instid0(VALU_DEP_4) | instskip(NEXT) | instid1(VALU_DEP_3)
	s_or_b32 vcc_lo, s0, vcc_lo
	v_add_co_ci_u32_e32 v35, vcc_lo, 0, v18, vcc_lo
	v_cmp_ne_u32_e32 vcc_lo, 0, v1
	s_delay_alu instid0(VALU_DEP_3)
	v_cmp_eq_u32_e64 s0, 3, v34
	v_cndmask_b32_e64 v1, 0, 1, vcc_lo
	v_cmp_lt_i32_e32 vcc_lo, 5, v34
	v_lshrrev_b32_e32 v34, 2, v17
	v_mul_f64 v[17:18], v[5:6], s[6:7]
	v_cndmask_b32_e64 v5, 0x7c00, v35, s1
	v_lshl_or_b32 v1, v1, 9, 0x7c00
	s_or_b32 vcc_lo, s0, vcc_lo
	v_add_co_ci_u32_e32 v6, vcc_lo, 0, v34, vcc_lo
	v_cmp_ne_u32_e32 vcc_lo, 0, v45
	v_cndmask_b32_e64 v34, 0, 1, vcc_lo
	v_cmp_eq_u32_e32 vcc_lo, 0x40f, v40
	s_delay_alu instid0(VALU_DEP_2) | instskip(SKIP_2) | instid1(VALU_DEP_2)
	v_lshl_or_b32 v34, v34, 9, 0x7c00
	v_cndmask_b32_e32 v1, v5, v1, vcc_lo
	v_cmp_gt_i32_e32 vcc_lo, 31, v30
	v_and_or_b32 v1, 0x8000, v14, v1
	v_cndmask_b32_e32 v35, 0x7c00, v6, vcc_lo
	v_cmp_eq_u32_e32 vcc_lo, 0x40f, v30
	v_mul_f64 v[5:6], v[32:33], s[6:7]
	v_lshrrev_b32_e32 v32, 16, v31
	v_mad_u64_u32 v[30:31], null, 0xffffcc00, s8, v[25:26]
	v_dual_cndmask_b32 v21, v35, v34 :: v_dual_and_b32 v14, 0xffff, v24
	v_and_b32_e32 v1, 0xffff, v1
	v_lshrrev_b32_e32 v34, v39, v29
	v_cvt_f32_f16_e32 v24, v38
	s_delay_alu instid0(VALU_DEP_4)
	v_and_or_b32 v21, 0x8000, v32, v21
	v_lshl_or_b32 v3, v3, 16, v14
	v_add_nc_u32_e32 v31, s9, v31
	v_lshlrev_b32_e32 v14, v39, v34
	v_lshrrev_b32_e32 v35, v42, v36
	v_lshl_or_b32 v1, v21, 16, v1
	global_store_b32 v[25:26], v3, off
	global_store_b32 v[30:31], v1, off
	s_clause 0x1
	scratch_load_b32 v39, off, off offset:44
	scratch_load_b32 v38, off, off offset:40
	v_lshrrev_b32_e32 v21, 16, v4
	v_lshlrev_b32_e32 v37, v42, v35
	scratch_load_b32 v42, off, off offset:32 ; 4-byte Folded Reload
	v_and_or_b32 v1, 0x1ff, v18, v17
	v_cvt_f64_f32_e32 v[32:33], v24
	v_add_co_u32 v24, vcc_lo, v30, s11
	v_add_co_ci_u32_e32 v25, vcc_lo, s10, v31, vcc_lo
	s_delay_alu instid0(VALU_DEP_4) | instskip(SKIP_3) | instid1(VALU_DEP_3)
	v_cmp_ne_u32_e32 vcc_lo, 0, v1
	v_bfe_u32 v17, v18, 20, 11
	v_lshrrev_b32_e32 v26, 8, v18
	v_cndmask_b32_e64 v1, 0, 1, vcc_lo
	v_sub_nc_u32_e32 v30, 0x3f1, v17
	v_add_nc_u32_e32 v17, 0xfffffc10, v17
	v_and_or_b32 v5, 0x1ff, v6, v5
	s_delay_alu instid0(VALU_DEP_4) | instskip(NEXT) | instid1(VALU_DEP_4)
	v_and_or_b32 v1, 0xffe, v26, v1
	v_med3_i32 v26, v30, 0, 13
	s_delay_alu instid0(VALU_DEP_3)
	v_cmp_ne_u32_e32 vcc_lo, 0, v5
	v_cndmask_b32_e64 v5, 0, 1, vcc_lo
	v_cmp_ne_u32_e32 vcc_lo, v20, v22
	v_add_nc_u32_e32 v22, 0xfffffc10, v13
	v_cndmask_b32_e64 v20, 0, 1, vcc_lo
	v_cmp_ne_u32_e32 vcc_lo, v14, v29
	v_lshrrev_b32_e32 v29, 8, v6
	s_delay_alu instid0(VALU_DEP_3) | instskip(SKIP_4) | instid1(VALU_DEP_4)
	v_or_b32_e32 v20, v27, v20
	v_cndmask_b32_e64 v13, 0, 1, vcc_lo
	v_lshl_or_b32 v27, v22, 12, v11
	v_cmp_gt_i32_e32 vcc_lo, 1, v22
	v_and_or_b32 v29, 0xffe, v29, v5
	v_or_b32_e32 v30, v34, v13
	v_mul_f64 v[13:14], v[32:33], s[6:7]
	v_cndmask_b32_e32 v27, v27, v20, vcc_lo
	v_cmp_gt_i32_e32 vcc_lo, 1, v28
	v_bfe_u32 v32, v6, 20, 11
	v_or_b32_e32 v33, 0x1000, v1
	v_lshrrev_b32_e32 v6, 16, v6
	s_delay_alu instid0(VALU_DEP_3)
	v_sub_nc_u32_e32 v34, 0x3f1, v32
	v_and_or_b32 v13, 0x1ff, v14, v13
	s_waitcnt vmcnt(2)
	v_mul_f16_e32 v3, v39, v21
	v_mul_f16_e32 v31, v39, v4
	s_waitcnt vmcnt(1)
	s_delay_alu instid0(VALU_DEP_2) | instskip(NEXT) | instid1(VALU_DEP_2)
	v_fmac_f16_e32 v3, v38, v4
	v_fma_f16 v21, v38, v21, -v31
	v_lshl_or_b32 v31, v28, 12, v15
	s_delay_alu instid0(VALU_DEP_3) | instskip(NEXT) | instid1(VALU_DEP_3)
	v_cvt_f32_f16_e32 v3, v3
	v_cvt_f32_f16_e32 v21, v21
	s_delay_alu instid0(VALU_DEP_3) | instskip(SKIP_1) | instid1(VALU_DEP_4)
	v_dual_cndmask_b32 v30, v31, v30 :: v_dual_and_b32 v31, 7, v27
	v_lshrrev_b32_e32 v27, 2, v27
	v_cvt_f64_f32_e32 v[3:4], v3
	s_delay_alu instid0(VALU_DEP_4) | instskip(NEXT) | instid1(VALU_DEP_4)
	v_cvt_f64_f32_e32 v[20:21], v21
	v_and_b32_e32 v5, 7, v30
	v_cmp_lt_i32_e32 vcc_lo, 5, v31
	v_cmp_eq_u32_e64 s0, 3, v31
	v_lshrrev_b32_e32 v30, 2, v30
	v_med3_i32 v31, v34, 0, 13
	v_cmp_lt_i32_e64 s1, 5, v5
	v_cmp_eq_u32_e64 s2, 3, v5
	s_or_b32 vcc_lo, s0, vcc_lo
	v_add_co_ci_u32_e32 v27, vcc_lo, 0, v27, vcc_lo
	v_cmp_ne_u32_e32 vcc_lo, 0, v11
	v_mul_f64 v[4:5], v[3:4], s[6:7]
	v_cndmask_b32_e64 v3, 0, 1, vcc_lo
	s_or_b32 vcc_lo, s2, s1
	v_cmp_gt_i32_e64 s1, 1, v17
	v_add_co_ci_u32_e32 v11, vcc_lo, 0, v30, vcc_lo
	v_cmp_ne_u32_e32 vcc_lo, 0, v15
	v_lshl_or_b32 v3, v3, 9, 0x7c00
	v_cndmask_b32_e64 v15, 0, 1, vcc_lo
	v_cmp_gt_i32_e32 vcc_lo, 31, v22
	s_delay_alu instid0(VALU_DEP_2)
	v_lshl_or_b32 v15, v15, 9, 0x7c00
	v_cndmask_b32_e32 v27, 0x7c00, v27, vcc_lo
	v_cmp_gt_i32_e32 vcc_lo, 31, v28
	v_cndmask_b32_e32 v11, 0x7c00, v11, vcc_lo
	v_cmp_eq_u32_e32 vcc_lo, 0x40f, v22
	v_lshrrev_b32_e32 v22, 8, v14
	v_cndmask_b32_e32 v3, v27, v3, vcc_lo
	v_cmp_eq_u32_e32 vcc_lo, 0x40f, v28
	s_delay_alu instid0(VALU_DEP_2)
	v_and_or_b32 v3, 0x8000, v19, v3
	v_cndmask_b32_e32 v11, v11, v15, vcc_lo
	v_lshrrev_b32_e32 v15, 16, v23
	v_cmp_ne_u32_e32 vcc_lo, 0, v13
	v_and_or_b32 v4, 0x1ff, v5, v4
	v_and_b32_e32 v3, 0xffff, v3
	v_lshrrev_b32_e32 v38, 8, v5
	v_and_or_b32 v11, 0x8000, v15, v11
	v_cndmask_b32_e64 v13, 0, 1, vcc_lo
	v_cmp_ne_u32_e32 vcc_lo, 0, v4
	v_mul_f64 v[19:20], v[20:21], s[6:7]
	v_or_b32_e32 v23, 0x1000, v29
	v_lshl_or_b32 v3, v11, 16, v3
	v_and_or_b32 v13, 0xffe, v22, v13
	v_cndmask_b32_e64 v34, 0, 1, vcc_lo
	v_lshrrev_b32_e32 v22, v26, v33
	v_lshrrev_b32_e32 v27, v31, v23
	global_store_b32 v[24:25], v3, off
	v_add_co_u32 v3, vcc_lo, v24, s11
	v_add_co_ci_u32_e32 v4, vcc_lo, s10, v25, vcc_lo
	v_and_or_b32 v25, 0xffe, v38, v34
	scratch_load_b32 v38, off, off offset:36 ; 4-byte Folded Reload
	v_lshlrev_b32_e32 v28, v31, v27
	v_lshrrev_b32_e32 v31, 16, v10
	v_cmp_ne_u32_e32 vcc_lo, v37, v36
	v_lshlrev_b32_e32 v26, v26, v22
	v_bfe_u32 v21, v14, 20, 11
	v_bfe_u32 v39, v5, 20, 11
	v_or_b32_e32 v40, 0x1000, v25
	v_cndmask_b32_e64 v36, 0, 1, vcc_lo
	v_lshrrev_b32_e32 v14, 16, v14
	v_sub_nc_u32_e32 v15, 0x3f1, v21
	v_sub_nc_u32_e32 v24, 0x3f1, v39
	s_delay_alu instid0(VALU_DEP_2) | instskip(SKIP_1) | instid1(VALU_DEP_3)
	v_med3_i32 v11, v15, 0, 13
	v_or_b32_e32 v15, 0x1000, v13
	v_med3_i32 v24, v24, 0, 13
	s_delay_alu instid0(VALU_DEP_2) | instskip(NEXT) | instid1(VALU_DEP_2)
	v_lshrrev_b32_e32 v30, v11, v15
	v_lshrrev_b32_e32 v37, v24, v40
	v_and_or_b32 v19, 0x1ff, v20, v19
	s_delay_alu instid0(VALU_DEP_3) | instskip(NEXT) | instid1(VALU_DEP_3)
	v_lshlrev_b32_e32 v11, v11, v30
	v_lshlrev_b32_e32 v24, v24, v37
	v_bfe_u32 v41, v20, 20, 11
	s_delay_alu instid0(VALU_DEP_4)
	v_cmp_ne_u32_e32 vcc_lo, 0, v19
	v_cndmask_b32_e64 v19, 0, 1, vcc_lo
	v_cmp_gt_i32_e32 vcc_lo, 1, v9
	s_waitcnt vmcnt(0)
	v_mul_f16_e32 v34, v38, v31
	v_mul_f16_e32 v38, v38, v10
	s_delay_alu instid0(VALU_DEP_2)
	v_fmac_f16_e32 v34, v42, v10
	v_or_b32_e32 v10, v35, v36
	v_lshl_or_b32 v35, v9, 12, v7
	v_lshrrev_b32_e32 v36, 8, v20
	v_fma_f16 v31, v42, v31, -v38
	v_lshrrev_b32_e32 v20, 16, v20
	s_delay_alu instid0(VALU_DEP_4) | instskip(SKIP_3) | instid1(VALU_DEP_4)
	v_cndmask_b32_e32 v10, v35, v10, vcc_lo
	v_cmp_ne_u32_e32 vcc_lo, v26, v33
	v_and_or_b32 v19, 0xffe, v36, v19
	v_sub_nc_u32_e32 v35, 0x3f1, v41
	v_and_b32_e32 v36, 7, v10
	v_cndmask_b32_e64 v26, 0, 1, vcc_lo
	v_lshrrev_b32_e32 v10, 2, v10
	s_delay_alu instid0(VALU_DEP_4)
	v_med3_i32 v33, v35, 0, 13
	v_or_b32_e32 v35, 0x1000, v19
	v_cmp_lt_i32_e32 vcc_lo, 5, v36
	v_cmp_eq_u32_e64 s0, 3, v36
	v_or_b32_e32 v22, v22, v26
	v_lshl_or_b32 v26, v17, 12, v1
	v_lshrrev_b32_e32 v36, v33, v35
	s_delay_alu instid0(VALU_DEP_4) | instskip(SKIP_1) | instid1(VALU_DEP_3)
	s_or_b32 vcc_lo, s0, vcc_lo
	v_add_co_ci_u32_e32 v10, vcc_lo, 0, v10, vcc_lo
	v_cndmask_b32_e64 v22, v26, v22, s1
	v_cmp_ne_u32_e32 vcc_lo, 0, v7
	v_cmp_eq_u32_e64 s1, 0x40f, v9
	v_lshlrev_b32_e32 v33, v33, v36
	s_delay_alu instid0(VALU_DEP_4)
	v_and_b32_e32 v26, 7, v22
	v_cndmask_b32_e64 v7, 0, 1, vcc_lo
	v_cmp_gt_i32_e32 vcc_lo, 31, v9
	v_lshrrev_b32_e32 v22, 2, v22
	v_cvt_f32_f16_e32 v9, v34
	v_cmp_eq_u32_e64 s0, 3, v26
	v_lshl_or_b32 v7, v7, 9, 0x7c00
	v_cndmask_b32_e32 v10, 0x7c00, v10, vcc_lo
	v_cmp_lt_i32_e32 vcc_lo, 5, v26
	v_add_nc_u32_e32 v26, 0xfffffc10, v32
	s_delay_alu instid0(VALU_DEP_3)
	v_cndmask_b32_e64 v7, v10, v7, s1
	s_or_b32 vcc_lo, s0, vcc_lo
	v_cvt_f64_f32_e32 v[9:10], v9
	v_add_co_ci_u32_e32 v22, vcc_lo, 0, v22, vcc_lo
	v_cmp_ne_u32_e32 vcc_lo, 0, v1
	v_and_or_b32 v7, 0x8000, v16, v7
	v_cndmask_b32_e64 v1, 0, 1, vcc_lo
	v_cmp_ne_u32_e32 vcc_lo, v28, v23
	s_delay_alu instid0(VALU_DEP_3) | instskip(SKIP_4) | instid1(VALU_DEP_2)
	v_and_b32_e32 v7, 0xffff, v7
	scratch_load_b32 v28, off, off offset:12 ; 4-byte Folded Reload
	v_lshl_or_b32 v1, v1, 9, 0x7c00
	v_cndmask_b32_e64 v23, 0, 1, vcc_lo
	v_cmp_gt_i32_e32 vcc_lo, 31, v17
	v_or_b32_e32 v23, v27, v23
	v_cndmask_b32_e32 v22, 0x7c00, v22, vcc_lo
	v_cmp_eq_u32_e32 vcc_lo, 0x40f, v17
	v_lshl_or_b32 v27, v26, 12, v29
	v_lshrrev_b32_e32 v17, 16, v18
	v_add_nc_u32_e32 v18, 0xfffffc10, v21
	v_cndmask_b32_e32 v1, v22, v1, vcc_lo
	v_cmp_gt_i32_e32 vcc_lo, 1, v26
	s_delay_alu instid0(VALU_DEP_3) | instskip(NEXT) | instid1(VALU_DEP_3)
	v_cmp_gt_i32_e64 s1, 1, v18
	v_and_or_b32 v1, 0x8000, v17, v1
	v_cndmask_b32_e32 v16, v27, v23, vcc_lo
	v_cmp_ne_u32_e32 vcc_lo, v11, v15
	v_lshl_or_b32 v17, v18, 12, v13
	scratch_load_b32 v27, off, off offset:20 ; 4-byte Folded Reload
	v_lshl_or_b32 v1, v1, 16, v7
	v_and_b32_e32 v15, 7, v16
	v_cndmask_b32_e64 v11, 0, 1, vcc_lo
	v_lshrrev_b32_e32 v7, 2, v16
	v_cvt_f32_f16_e32 v16, v31
	v_mul_f64 v[9:10], v[9:10], s[6:7]
	v_cmp_lt_i32_e32 vcc_lo, 5, v15
	v_cmp_eq_u32_e64 s0, 3, v15
	v_or_b32_e32 v11, v30, v11
	global_store_b32 v[3:4], v1, off
	s_or_b32 vcc_lo, s0, vcc_lo
	v_cndmask_b32_e64 v11, v17, v11, s1
	v_add_co_ci_u32_e32 v7, vcc_lo, 0, v7, vcc_lo
	v_cmp_ne_u32_e32 vcc_lo, 0, v29
	v_cmp_eq_u32_e64 s1, 0x40f, v26
	s_delay_alu instid0(VALU_DEP_4)
	v_and_b32_e32 v17, 7, v11
	v_lshrrev_b32_e32 v11, 2, v11
	v_cndmask_b32_e64 v15, 0, 1, vcc_lo
	v_cmp_gt_i32_e32 vcc_lo, 31, v26
	scratch_load_b32 v26, off, off offset:24 ; 4-byte Folded Reload
	v_cmp_eq_u32_e64 s0, 3, v17
	v_lshl_or_b32 v21, v15, 9, 0x7c00
	v_cndmask_b32_e32 v7, 0x7c00, v7, vcc_lo
	v_cmp_lt_i32_e32 vcc_lo, 5, v17
	v_cvt_f64_f32_e32 v[15:16], v16
	s_delay_alu instid0(VALU_DEP_3)
	v_cndmask_b32_e64 v7, v7, v21, s1
	v_cmp_ne_u32_e64 s1, v24, v40
	scratch_load_b32 v24, off, off offset:28 ; 4-byte Folded Reload
	s_or_b32 vcc_lo, s0, vcc_lo
	v_add_nc_u32_e32 v21, 0xfffffc10, v39
	v_add_co_ci_u32_e32 v11, vcc_lo, 0, v11, vcc_lo
	v_cmp_ne_u32_e32 vcc_lo, 0, v13
	v_cndmask_b32_e64 v17, 0, 1, s1
	s_delay_alu instid0(VALU_DEP_4) | instskip(SKIP_4) | instid1(VALU_DEP_4)
	v_lshl_or_b32 v22, v21, 12, v25
	v_and_or_b32 v1, 0x1ff, v10, v9
	v_cndmask_b32_e64 v13, 0, 1, vcc_lo
	v_cmp_gt_i32_e32 vcc_lo, 31, v18
	v_or_b32_e32 v17, v37, v17
	v_cmp_ne_u32_e64 s1, 0, v1
	s_delay_alu instid0(VALU_DEP_4) | instskip(SKIP_2) | instid1(VALU_DEP_4)
	v_lshl_or_b32 v13, v13, 9, 0x7c00
	v_cndmask_b32_e32 v11, 0x7c00, v11, vcc_lo
	v_cmp_gt_i32_e32 vcc_lo, 1, v21
	v_cndmask_b32_e64 v1, 0, 1, s1
	v_cndmask_b32_e32 v17, v22, v17, vcc_lo
	v_cmp_eq_u32_e32 vcc_lo, 0x40f, v18
	v_add_nc_u32_e32 v18, 0xfffffc10, v41
	v_and_or_b32 v22, 0x8000, v6, v7
	s_delay_alu instid0(VALU_DEP_4) | instskip(SKIP_4) | instid1(VALU_DEP_4)
	v_and_b32_e32 v23, 7, v17
	v_cndmask_b32_e32 v11, v11, v13, vcc_lo
	v_cmp_ne_u32_e32 vcc_lo, v33, v35
	v_lshl_or_b32 v7, v18, 12, v19
	v_cmp_gt_i32_e64 s0, 1, v18
	v_and_or_b32 v11, 0x8000, v14, v11
	v_cndmask_b32_e64 v13, 0, 1, vcc_lo
	v_lshrrev_b32_e32 v14, 16, v0
	v_cmp_lt_i32_e32 vcc_lo, 5, v23
	s_delay_alu instid0(VALU_DEP_3) | instskip(NEXT) | instid1(VALU_DEP_1)
	v_or_b32_e32 v6, v36, v13
	v_cndmask_b32_e64 v13, v7, v6, s0
	v_mul_f64 v[6:7], v[15:16], s[6:7]
	v_cmp_eq_u32_e64 s0, 3, v23
	v_lshrrev_b32_e32 v15, 2, v17
	v_bfe_u32 v17, v10, 20, 11
	v_and_b32_e32 v9, 7, v13
	v_lshrrev_b32_e32 v13, 2, v13
	s_or_b32 vcc_lo, s0, vcc_lo
	v_add_co_ci_u32_e32 v15, vcc_lo, 0, v15, vcc_lo
	s_delay_alu instid0(VALU_DEP_3)
	v_cmp_lt_i32_e64 s1, 5, v9
	v_cmp_eq_u32_e64 s2, 3, v9
	v_lshrrev_b32_e32 v9, 8, v10
	v_cmp_ne_u32_e32 vcc_lo, 0, v25
	v_sub_nc_u32_e32 v25, 0x3f1, v17
	v_add_nc_u32_e32 v17, 0xfffffc10, v17
	s_delay_alu instid0(VALU_DEP_4) | instskip(SKIP_3) | instid1(VALU_DEP_3)
	v_and_or_b32 v9, 0xffe, v9, v1
	v_cndmask_b32_e64 v1, 0, 1, vcc_lo
	v_cmp_gt_i32_e32 vcc_lo, 31, v21
	v_med3_i32 v25, v25, 0, 13
	v_lshl_or_b32 v23, v1, 9, 0x7c00
	v_cndmask_b32_e32 v15, 0x7c00, v15, vcc_lo
	v_cmp_eq_u32_e32 vcc_lo, 0x40f, v21
	s_delay_alu instid0(VALU_DEP_2)
	v_cndmask_b32_e32 v15, v15, v23, vcc_lo
	s_or_b32 vcc_lo, s2, s1
	v_lshrrev_b32_e32 v23, 16, v5
	v_add_co_ci_u32_e32 v13, vcc_lo, 0, v13, vcc_lo
	v_cmp_ne_u32_e32 vcc_lo, 0, v19
	v_and_or_b32 v6, 0x1ff, v7, v6
	v_cndmask_b32_e64 v19, 0, 1, vcc_lo
	v_cmp_gt_i32_e32 vcc_lo, 31, v18
	s_delay_alu instid0(VALU_DEP_2)
	v_lshl_or_b32 v19, v19, 9, 0x7c00
	v_cndmask_b32_e32 v13, 0x7c00, v13, vcc_lo
	v_cmp_ne_u32_e32 vcc_lo, 0, v6
	s_waitcnt vmcnt(0)
	v_mul_f16_e32 v16, v24, v14
	v_mul_f16_e32 v24, v24, v0
	s_delay_alu instid0(VALU_DEP_2) | instskip(NEXT) | instid1(VALU_DEP_2)
	v_fmac_f16_e32 v16, v26, v0
	v_fma_f16 v14, v26, v14, -v24
	v_bfe_u32 v26, v7, 20, 11
	s_delay_alu instid0(VALU_DEP_3) | instskip(NEXT) | instid1(VALU_DEP_3)
	v_cvt_f32_f16_e32 v16, v16
	v_cvt_f32_f16_e32 v5, v14
	v_cndmask_b32_e64 v14, 0, 1, vcc_lo
	s_delay_alu instid0(VALU_DEP_3) | instskip(SKIP_3) | instid1(VALU_DEP_2)
	v_cvt_f64_f32_e32 v[0:1], v16
	v_and_b32_e32 v16, 0xffff, v22
	v_or_b32_e32 v22, 0x1000, v9
	v_cvt_f64_f32_e32 v[5:6], v5
	v_lshrrev_b32_e32 v21, v25, v22
	s_delay_alu instid0(VALU_DEP_1) | instskip(SKIP_2) | instid1(VALU_DEP_3)
	v_lshlrev_b32_e32 v24, v25, v21
	v_lshrrev_b32_e32 v25, 8, v7
	v_lshrrev_b32_e32 v7, 16, v7
	v_cmp_ne_u32_e32 vcc_lo, v24, v22
	s_delay_alu instid0(VALU_DEP_3) | instskip(SKIP_3) | instid1(VALU_DEP_3)
	v_and_or_b32 v24, 0xffe, v25, v14
	v_sub_nc_u32_e32 v14, 0x3f1, v26
	v_cndmask_b32_e64 v22, 0, 1, vcc_lo
	v_cmp_eq_u32_e32 vcc_lo, 0x40f, v18
	v_med3_i32 v25, v14, 0, 13
	v_cndmask_b32_e32 v18, v13, v19, vcc_lo
	s_delay_alu instid0(VALU_DEP_4) | instskip(SKIP_4) | instid1(VALU_DEP_4)
	v_or_b32_e32 v19, v21, v22
	v_lshl_or_b32 v21, v17, 12, v9
	v_cmp_gt_i32_e32 vcc_lo, 1, v17
	v_or_b32_e32 v22, 0x1000, v24
	v_mul_f64 v[13:14], v[0:1], s[6:7]
	v_cndmask_b32_e32 v1, v21, v19, vcc_lo
	v_add_nc_u32_e32 v21, 0xfffffc10, v26
	scratch_load_b32 v26, off, off offset:16 ; 4-byte Folded Reload
	v_and_or_b32 v0, 0x8000, v23, v15
	v_lshrrev_b32_e32 v15, v25, v22
	v_lshl_or_b32 v19, v11, 16, v16
	v_and_b32_e32 v16, 7, v1
	v_add_co_u32 v3, vcc_lo, v3, s11
	v_and_or_b32 v11, 0x8000, v20, v18
	v_lshlrev_b32_e32 v18, v25, v15
	v_add_co_ci_u32_e32 v4, vcc_lo, s10, v4, vcc_lo
	v_cmp_lt_i32_e32 vcc_lo, 5, v16
	v_cmp_eq_u32_e64 s0, 3, v16
	v_lshrrev_b32_e32 v1, 2, v1
	v_cmp_ne_u32_e64 s1, v18, v22
	v_mul_f64 v[5:6], v[5:6], s[6:7]
	v_and_b32_e32 v0, 0xffff, v0
	s_or_b32 vcc_lo, s0, vcc_lo
	v_lshl_or_b32 v22, v21, 12, v24
	v_add_co_ci_u32_e32 v1, vcc_lo, 0, v1, vcc_lo
	v_cndmask_b32_e64 v18, 0, 1, s1
	v_cmp_ne_u32_e32 vcc_lo, 0, v9
	v_lshl_or_b32 v23, v11, 16, v0
	v_lshrrev_b32_e32 v20, 16, v12
	s_delay_alu instid0(VALU_DEP_4) | instskip(SKIP_2) | instid1(VALU_DEP_4)
	v_or_b32_e32 v18, v15, v18
	v_cndmask_b32_e64 v9, 0, 1, vcc_lo
	v_cmp_gt_i32_e32 vcc_lo, 1, v21
	v_mul_f16_e32 v16, v27, v20
	s_delay_alu instid0(VALU_DEP_3) | instskip(SKIP_3) | instid1(VALU_DEP_3)
	v_lshl_or_b32 v9, v9, 9, 0x7c00
	v_cndmask_b32_e32 v11, v22, v18, vcc_lo
	v_cmp_gt_i32_e32 vcc_lo, 31, v17
	v_and_or_b32 v13, 0x1ff, v14, v13
	v_and_b32_e32 v22, 7, v11
	v_cndmask_b32_e32 v18, 0x7c00, v1, vcc_lo
	v_add_co_u32 v0, vcc_lo, v3, s11
	v_add_co_ci_u32_e32 v1, vcc_lo, s10, v4, vcc_lo
	v_cmp_eq_u32_e32 vcc_lo, 0x40f, v17
	v_cmp_ne_u32_e64 s0, 0, v13
	v_lshrrev_b32_e32 v13, 8, v14
	v_cndmask_b32_e32 v17, v18, v9, vcc_lo
	v_cmp_lt_i32_e32 vcc_lo, 5, v22
	s_delay_alu instid0(VALU_DEP_4)
	v_cndmask_b32_e64 v9, 0, 1, s0
	v_cmp_eq_u32_e64 s0, 3, v22
	v_lshrrev_b32_e32 v22, 16, v10
	v_lshrrev_b32_e32 v10, 2, v11
	v_bfe_u32 v18, v14, 20, 11
	v_and_or_b32 v13, 0xffe, v13, v9
	s_or_b32 vcc_lo, s0, vcc_lo
	v_mul_f16_e32 v11, v27, v12
	v_add_co_ci_u32_e32 v10, vcc_lo, 0, v10, vcc_lo
	v_sub_nc_u32_e32 v9, 0x3f1, v18
	v_cmp_ne_u32_e32 vcc_lo, 0, v24
	v_or_b32_e32 v25, 0x1000, v13
	v_and_or_b32 v5, 0x1ff, v6, v5
	v_add_nc_u32_e32 v18, 0xfffffc10, v18
	v_med3_i32 v9, v9, 0, 13
	v_and_or_b32 v17, 0x8000, v22, v17
	v_lshrrev_b32_e32 v14, 16, v14
	s_delay_alu instid0(VALU_DEP_3) | instskip(NEXT) | instid1(VALU_DEP_3)
	v_lshrrev_b32_e32 v24, v9, v25
	v_and_b32_e32 v17, 0xffff, v17
	s_delay_alu instid0(VALU_DEP_2)
	v_lshlrev_b32_e32 v27, v9, v24
	s_waitcnt vmcnt(0)
	v_fmac_f16_e32 v16, v26, v12
	v_cndmask_b32_e64 v12, 0, 1, vcc_lo
	v_cmp_gt_i32_e32 vcc_lo, 31, v21
	v_fma_f16 v11, v26, v20, -v11
	s_delay_alu instid0(VALU_DEP_4) | instskip(NEXT) | instid1(VALU_DEP_4)
	v_cvt_f32_f16_e32 v15, v16
	v_lshl_or_b32 v26, v12, 9, 0x7c00
	v_cndmask_b32_e32 v20, 0x7c00, v10, vcc_lo
	v_cmp_ne_u32_e32 vcc_lo, 0, v5
	v_cvt_f32_f16_e32 v11, v11
	v_cvt_f64_f32_e32 v[15:16], v15
	v_cndmask_b32_e64 v5, 0, 1, vcc_lo
	v_cmp_eq_u32_e32 vcc_lo, 0x40f, v21
	s_delay_alu instid0(VALU_DEP_4) | instskip(SKIP_3) | instid1(VALU_DEP_3)
	v_cvt_f64_f32_e32 v[11:12], v11
	v_cndmask_b32_e32 v20, v20, v26, vcc_lo
	v_cmp_ne_u32_e32 vcc_lo, v27, v25
	v_lshrrev_b32_e32 v26, 16, v2
	v_and_or_b32 v7, 0x8000, v7, v20
	v_cndmask_b32_e64 v21, 0, 1, vcc_lo
	v_cmp_gt_i32_e32 vcc_lo, 1, v18
	s_delay_alu instid0(VALU_DEP_4) | instskip(NEXT) | instid1(VALU_DEP_3)
	v_mul_f16_e32 v22, v28, v26
	v_or_b32_e32 v21, v24, v21
	v_lshl_or_b32 v24, v18, 12, v13
	s_delay_alu instid0(VALU_DEP_1)
	v_cndmask_b32_e32 v21, v24, v21, vcc_lo
	scratch_load_b32 v24, off, off offset:8 ; 4-byte Folded Reload
	global_store_b32 v[3:4], v19, off
	global_store_b32 v[0:1], v23, off
	v_lshl_or_b32 v3, v7, 16, v17
	v_and_b32_e32 v20, 7, v21
	v_lshrrev_b32_e32 v17, 2, v21
	s_delay_alu instid0(VALU_DEP_2)
	v_cmp_lt_i32_e32 vcc_lo, 5, v20
	v_mul_f64 v[9:10], v[15:16], s[6:7]
	v_lshrrev_b32_e32 v15, 8, v6
	v_bfe_u32 v16, v6, 20, 11
	v_lshrrev_b32_e32 v6, 16, v6
	v_mul_f64 v[11:12], v[11:12], s[6:7]
	s_delay_alu instid0(VALU_DEP_4) | instskip(NEXT) | instid1(VALU_DEP_4)
	v_and_or_b32 v15, 0xffe, v15, v5
	v_sub_nc_u32_e32 v5, 0x3f1, v16
	v_add_nc_u32_e32 v16, 0xfffffc10, v16
	s_delay_alu instid0(VALU_DEP_3) | instskip(NEXT) | instid1(VALU_DEP_3)
	v_or_b32_e32 v25, 0x1000, v15
	v_med3_i32 v5, v5, 0, 13
	s_delay_alu instid0(VALU_DEP_3) | instskip(NEXT) | instid1(VALU_DEP_2)
	v_lshl_or_b32 v19, v16, 12, v15
	v_lshrrev_b32_e32 v27, v5, v25
	s_delay_alu instid0(VALU_DEP_1) | instskip(NEXT) | instid1(VALU_DEP_1)
	v_lshlrev_b32_e32 v5, v5, v27
	v_cmp_ne_u32_e64 s0, v5, v25
	s_delay_alu instid0(VALU_DEP_1) | instskip(SKIP_1) | instid1(VALU_DEP_2)
	v_cndmask_b32_e64 v7, 0, 1, s0
	v_cmp_eq_u32_e64 s0, 3, v20
	v_or_b32_e32 v7, v27, v7
	v_and_or_b32 v9, 0x1ff, v10, v9
	s_delay_alu instid0(VALU_DEP_3) | instskip(SKIP_2) | instid1(VALU_DEP_3)
	s_or_b32 vcc_lo, s0, vcc_lo
	v_lshrrev_b32_e32 v20, 8, v10
	v_add_co_ci_u32_e32 v17, vcc_lo, 0, v17, vcc_lo
	v_cmp_ne_u32_e64 s1, 0, v9
	v_cmp_gt_i32_e32 vcc_lo, 1, v16
	v_bfe_u32 v21, v10, 20, 11
	v_and_or_b32 v11, 0x1ff, v12, v11
	s_delay_alu instid0(VALU_DEP_4)
	v_cndmask_b32_e64 v9, 0, 1, s1
	v_cndmask_b32_e32 v7, v19, v7, vcc_lo
	v_cmp_ne_u32_e32 vcc_lo, 0, v13
	v_sub_nc_u32_e32 v19, 0x3f1, v21
	v_cmp_eq_u32_e64 s1, 0x40f, v18
	v_and_or_b32 v9, 0xffe, v20, v9
	v_and_b32_e32 v20, 7, v7
	v_cndmask_b32_e64 v13, 0, 1, vcc_lo
	v_cmp_gt_i32_e32 vcc_lo, 31, v18
	v_med3_i32 v19, v19, 0, 13
	v_lshrrev_b32_e32 v7, 2, v7
	v_cmp_eq_u32_e64 s0, 3, v20
	v_lshl_or_b32 v13, v13, 9, 0x7c00
	v_cndmask_b32_e32 v17, 0x7c00, v17, vcc_lo
	v_cmp_lt_i32_e32 vcc_lo, 5, v20
	v_add_nc_u32_e32 v18, 0xfffffc10, v21
	v_lshrrev_b32_e32 v21, 16, v8
	s_delay_alu instid0(VALU_DEP_4) | instskip(SKIP_3) | instid1(VALU_DEP_3)
	v_cndmask_b32_e64 v13, v17, v13, s1
	s_or_b32 vcc_lo, s0, vcc_lo
	v_add_co_ci_u32_e32 v7, vcc_lo, 0, v7, vcc_lo
	v_cmp_ne_u32_e32 vcc_lo, 0, v15
	v_and_or_b32 v20, 0x8000, v14, v13
	v_cndmask_b32_e64 v15, 0, 1, vcc_lo
	s_delay_alu instid0(VALU_DEP_2) | instskip(NEXT) | instid1(VALU_DEP_2)
	v_and_b32_e32 v20, 0xffff, v20
	v_lshl_or_b32 v15, v15, 9, 0x7c00
	s_waitcnt vmcnt(0)
	v_fmac_f16_e32 v22, v24, v2
	v_mul_f16_e32 v2, v28, v2
	s_delay_alu instid0(VALU_DEP_2) | instskip(SKIP_1) | instid1(VALU_DEP_3)
	v_cvt_f32_f16_e32 v4, v22
	v_or_b32_e32 v22, 0x1000, v9
	v_fma_f16 v2, v24, v26, -v2
	scratch_load_b32 v24, off, off          ; 4-byte Folded Reload
	v_cvt_f64_f32_e32 v[4:5], v4
	v_lshrrev_b32_e32 v23, v19, v22
	v_cvt_f32_f16_e32 v2, v2
	s_delay_alu instid0(VALU_DEP_2) | instskip(SKIP_1) | instid1(VALU_DEP_3)
	v_lshlrev_b32_e32 v17, v19, v23
	v_lshl_or_b32 v19, v18, 12, v9
	v_cvt_f64_f32_e32 v[13:14], v2
	v_bfe_u32 v2, v12, 20, 11
	s_delay_alu instid0(VALU_DEP_4) | instskip(SKIP_2) | instid1(VALU_DEP_2)
	v_cmp_ne_u32_e32 vcc_lo, v17, v22
	v_cndmask_b32_e64 v17, 0, 1, vcc_lo
	v_cmp_gt_i32_e32 vcc_lo, 31, v16
	v_or_b32_e32 v17, v23, v17
	scratch_load_b32 v23, off, off offset:4 ; 4-byte Folded Reload
	v_cndmask_b32_e32 v7, 0x7c00, v7, vcc_lo
	v_cmp_gt_i32_e32 vcc_lo, 1, v18
	v_cndmask_b32_e32 v17, v19, v17, vcc_lo
	v_cmp_ne_u32_e32 vcc_lo, 0, v11
	v_lshrrev_b32_e32 v19, 8, v12
	v_lshrrev_b32_e32 v12, 16, v12
	v_cndmask_b32_e64 v11, 0, 1, vcc_lo
	v_cmp_eq_u32_e32 vcc_lo, 0x40f, v16
	v_sub_nc_u32_e32 v16, 0x3f1, v2
	v_mul_f64 v[4:5], v[4:5], s[6:7]
	v_add_nc_u32_e32 v2, 0xfffffc10, v2
	v_and_or_b32 v11, 0xffe, v19, v11
	v_cndmask_b32_e32 v7, v7, v15, vcc_lo
	v_and_b32_e32 v15, 7, v17
	v_med3_i32 v16, v16, 0, 13
	s_delay_alu instid0(VALU_DEP_4) | instskip(NEXT) | instid1(VALU_DEP_3)
	v_or_b32_e32 v22, 0x1000, v11
	v_cmp_lt_i32_e32 vcc_lo, 5, v15
	v_cmp_eq_u32_e64 s0, 3, v15
	v_and_or_b32 v15, 0x8000, v6, v7
	v_lshrrev_b32_e32 v6, 2, v17
	v_lshrrev_b32_e32 v17, v16, v22
	s_delay_alu instid0(VALU_DEP_4) | instskip(NEXT) | instid1(VALU_DEP_3)
	s_or_b32 vcc_lo, s0, vcc_lo
	v_lshl_or_b32 v15, v15, 16, v20
	s_delay_alu instid0(VALU_DEP_2) | instskip(SKIP_3) | instid1(VALU_DEP_1)
	v_lshlrev_b32_e32 v16, v16, v17
	v_and_or_b32 v4, 0x1ff, v5, v4
	s_waitcnt vmcnt(0)
	v_mul_f16_e32 v19, v23, v21
	v_fmac_f16_e32 v19, v24, v8
	v_mul_f16_e32 v8, v23, v8
	s_delay_alu instid0(VALU_DEP_2) | instskip(SKIP_2) | instid1(VALU_DEP_4)
	v_cvt_f32_f16_e32 v7, v19
	v_add_co_ci_u32_e32 v19, vcc_lo, 0, v6, vcc_lo
	v_cmp_ne_u32_e32 vcc_lo, 0, v9
	v_fma_f16 v8, v24, v21, -v8
	s_delay_alu instid0(VALU_DEP_4)
	v_cvt_f64_f32_e32 v[6:7], v7
	v_lshrrev_b32_e32 v9, 8, v5
	v_bfe_u32 v21, v5, 20, 11
	v_cndmask_b32_e64 v23, 0, 1, vcc_lo
	v_cmp_ne_u32_e32 vcc_lo, 0, v4
	v_lshrrev_b32_e32 v5, 16, v5
	s_delay_alu instid0(VALU_DEP_4) | instskip(NEXT) | instid1(VALU_DEP_4)
	v_sub_nc_u32_e32 v24, 0x3f1, v21
	v_lshl_or_b32 v23, v23, 9, 0x7c00
	v_cndmask_b32_e64 v4, 0, 1, vcc_lo
	v_cmp_ne_u32_e32 vcc_lo, v16, v22
	v_cvt_f32_f16_e32 v22, v8
	v_med3_i32 v24, v24, 0, 13
	s_delay_alu instid0(VALU_DEP_4)
	v_and_or_b32 v4, 0xffe, v9, v4
	v_cndmask_b32_e64 v16, 0, 1, vcc_lo
	v_mul_f64 v[8:9], v[13:14], s[6:7]
	v_cvt_f64_f32_e32 v[13:14], v22
	v_cmp_gt_i32_e32 vcc_lo, 31, v18
	v_or_b32_e32 v22, 0x1000, v4
	v_or_b32_e32 v16, v17, v16
	v_lshl_or_b32 v17, v2, 12, v11
	v_cndmask_b32_e32 v19, 0x7c00, v19, vcc_lo
	v_cmp_gt_i32_e32 vcc_lo, 1, v2
	v_lshrrev_b32_e32 v25, v24, v22
	s_delay_alu instid0(VALU_DEP_4) | instskip(SKIP_2) | instid1(VALU_DEP_4)
	v_cndmask_b32_e32 v16, v17, v16, vcc_lo
	v_add_co_u32 v0, vcc_lo, v0, s11
	v_add_co_ci_u32_e32 v1, vcc_lo, s10, v1, vcc_lo
	v_lshlrev_b32_e32 v17, v24, v25
	s_delay_alu instid0(VALU_DEP_4) | instskip(SKIP_2) | instid1(VALU_DEP_4)
	v_and_b32_e32 v24, 7, v16
	v_cmp_eq_u32_e32 vcc_lo, 0x40f, v18
	v_mul_f64 v[6:7], v[6:7], s[6:7]
	v_cmp_ne_u32_e64 s1, v17, v22
	s_delay_alu instid0(VALU_DEP_4)
	v_cmp_eq_u32_e64 s0, 3, v24
	v_cndmask_b32_e32 v18, v19, v23, vcc_lo
	v_cmp_lt_i32_e32 vcc_lo, 5, v24
	v_lshrrev_b32_e32 v19, 16, v10
	v_lshrrev_b32_e32 v10, 2, v16
	v_cndmask_b32_e64 v16, 0, 1, s1
	v_add_nc_u32_e32 v17, 0xfffffc10, v21
	s_or_b32 vcc_lo, s0, vcc_lo
	v_and_or_b32 v18, 0x8000, v19, v18
	v_add_co_ci_u32_e32 v10, vcc_lo, 0, v10, vcc_lo
	v_cmp_ne_u32_e32 vcc_lo, 0, v11
	v_or_b32_e32 v16, v25, v16
	v_lshl_or_b32 v20, v17, 12, v4
	v_and_or_b32 v8, 0x1ff, v9, v8
	v_bfe_u32 v23, v9, 20, 11
	v_cndmask_b32_e64 v11, 0, 1, vcc_lo
	v_cmp_gt_i32_e32 vcc_lo, 31, v2
	v_and_b32_e32 v18, 0xffff, v18
	s_delay_alu instid0(VALU_DEP_3)
	v_lshl_or_b32 v22, v11, 9, 0x7c00
	v_cndmask_b32_e32 v21, 0x7c00, v10, vcc_lo
	v_mul_f64 v[10:11], v[13:14], s[6:7]
	v_add_co_u32 v13, vcc_lo, v0, s11
	v_add_co_ci_u32_e32 v14, vcc_lo, s10, v1, vcc_lo
	v_cmp_gt_i32_e32 vcc_lo, 1, v17
	v_cndmask_b32_e32 v16, v20, v16, vcc_lo
	v_cmp_ne_u32_e32 vcc_lo, 0, v8
	v_lshrrev_b32_e32 v20, 8, v9
	v_and_or_b32 v6, 0x1ff, v7, v6
	v_lshrrev_b32_e32 v9, 16, v9
	v_cndmask_b32_e64 v8, 0, 1, vcc_lo
	v_cmp_eq_u32_e32 vcc_lo, 0x40f, v2
	s_delay_alu instid0(VALU_DEP_2) | instskip(SKIP_4) | instid1(VALU_DEP_4)
	v_and_or_b32 v8, 0xffe, v20, v8
	v_dual_cndmask_b32 v2, v21, v22 :: v_dual_and_b32 v21, 7, v16
	v_sub_nc_u32_e32 v20, 0x3f1, v23
	v_lshrrev_b32_e32 v16, 2, v16
	v_bfe_u32 v22, v7, 20, 11
	v_and_or_b32 v2, 0x8000, v12, v2
	v_cmp_lt_i32_e32 vcc_lo, 5, v21
	v_cmp_eq_u32_e64 s0, 3, v21
	v_or_b32_e32 v12, 0x1000, v8
	v_med3_i32 v19, v20, 0, 13
	v_lshrrev_b32_e32 v21, 8, v7
	v_lshrrev_b32_e32 v7, 16, v7
	s_or_b32 vcc_lo, s0, vcc_lo
	v_lshl_or_b32 v2, v2, 16, v18
	v_add_co_ci_u32_e32 v16, vcc_lo, 0, v16, vcc_lo
	v_lshrrev_b32_e32 v20, v19, v12
	v_cmp_ne_u32_e32 vcc_lo, 0, v6
	v_and_or_b32 v10, 0x1ff, v11, v10
	v_lshrrev_b32_e32 v24, 8, v11
	v_bfe_u32 v25, v11, 20, 11
	v_lshlrev_b32_e32 v19, v19, v20
	v_cndmask_b32_e64 v6, 0, 1, vcc_lo
	v_cmp_ne_u32_e32 vcc_lo, 0, v4
	s_delay_alu instid0(VALU_DEP_2)
	v_and_or_b32 v6, 0xffe, v21, v6
	v_cndmask_b32_e64 v4, 0, 1, vcc_lo
	v_cmp_ne_u32_e32 vcc_lo, v19, v12
	v_sub_nc_u32_e32 v21, 0x3f1, v22
	v_add_nc_u32_e32 v19, 0xfffffc10, v23
	v_or_b32_e32 v23, 0x1000, v6
	v_lshl_or_b32 v4, v4, 9, 0x7c00
	v_cndmask_b32_e64 v12, 0, 1, vcc_lo
	v_cmp_gt_i32_e32 vcc_lo, 31, v17
	v_med3_i32 v21, v21, 0, 13
	s_delay_alu instid0(VALU_DEP_3)
	v_or_b32_e32 v12, v20, v12
	v_cndmask_b32_e32 v16, 0x7c00, v16, vcc_lo
	v_cmp_ne_u32_e32 vcc_lo, 0, v10
	v_lshl_or_b32 v20, v19, 12, v8
	v_lshrrev_b32_e32 v26, v21, v23
	v_cndmask_b32_e64 v10, 0, 1, vcc_lo
	v_cmp_gt_i32_e32 vcc_lo, 1, v19
	s_delay_alu instid0(VALU_DEP_2)
	v_and_or_b32 v10, 0xffe, v24, v10
	v_sub_nc_u32_e32 v24, 0x3f1, v25
	v_cndmask_b32_e32 v12, v20, v12, vcc_lo
	v_lshlrev_b32_e32 v20, v21, v26
	v_cmp_eq_u32_e32 vcc_lo, 0x40f, v17
	v_or_b32_e32 v21, 0x1000, v10
	v_med3_i32 v24, v24, 0, 13
	v_add_nc_u32_e32 v17, 0xfffffc10, v22
	v_and_b32_e32 v27, 7, v12
	v_cndmask_b32_e32 v4, v16, v4, vcc_lo
	v_cmp_ne_u32_e32 vcc_lo, v20, v23
	v_lshrrev_b32_e32 v20, v24, v21
	v_lshl_or_b32 v22, v17, 12, v6
	v_cmp_gt_i32_e64 s1, 1, v17
	v_cmp_eq_u32_e64 s0, 3, v27
	v_cndmask_b32_e64 v16, 0, 1, vcc_lo
	v_lshlrev_b32_e32 v23, v24, v20
	v_cmp_lt_i32_e32 vcc_lo, 5, v27
	v_lshrrev_b32_e32 v12, 2, v12
	v_and_or_b32 v4, 0x8000, v5, v4
	v_or_b32_e32 v16, v26, v16
	s_or_b32 vcc_lo, s0, vcc_lo
	s_delay_alu instid0(VALU_DEP_3) | instskip(NEXT) | instid1(VALU_DEP_2)
	v_add_co_ci_u32_e32 v12, vcc_lo, 0, v12, vcc_lo
	v_cndmask_b32_e64 v16, v22, v16, s1
	v_cmp_ne_u32_e64 s1, v23, v21
	v_add_nc_u32_e32 v22, 0xfffffc10, v25
	v_cmp_ne_u32_e32 vcc_lo, 0, v8
	s_delay_alu instid0(VALU_DEP_4) | instskip(NEXT) | instid1(VALU_DEP_4)
	v_and_b32_e32 v23, 7, v16
	v_cndmask_b32_e64 v21, 0, 1, s1
	s_delay_alu instid0(VALU_DEP_4)
	v_cmp_gt_i32_e64 s0, 1, v22
	v_cndmask_b32_e64 v8, 0, 1, vcc_lo
	v_lshrrev_b32_e32 v16, 2, v16
	v_cmp_lt_i32_e32 vcc_lo, 5, v23
	v_or_b32_e32 v20, v20, v21
	v_lshl_or_b32 v21, v22, 12, v10
	v_cmp_gt_i32_e64 s1, 31, v19
	v_lshl_or_b32 v8, v8, 9, 0x7c00
	s_delay_alu instid0(VALU_DEP_3) | instskip(SKIP_1) | instid1(VALU_DEP_4)
	v_cndmask_b32_e64 v5, v21, v20, s0
	v_cmp_eq_u32_e64 s0, 3, v23
	v_cndmask_b32_e64 v12, 0x7c00, v12, s1
	v_cmp_eq_u32_e64 s1, 0x40f, v19
	s_delay_alu instid0(VALU_DEP_4) | instskip(NEXT) | instid1(VALU_DEP_4)
	v_and_b32_e32 v20, 7, v5
	s_or_b32 vcc_lo, s0, vcc_lo
	v_lshrrev_b32_e32 v5, 2, v5
	v_add_co_ci_u32_e32 v16, vcc_lo, 0, v16, vcc_lo
	v_cmp_ne_u32_e32 vcc_lo, 0, v6
	v_cmp_eq_u32_e64 s0, 3, v20
	v_cndmask_b32_e64 v8, v12, v8, s1
	v_cmp_gt_i32_e64 s1, 31, v17
	v_cndmask_b32_e64 v6, 0, 1, vcc_lo
	v_cmp_lt_i32_e32 vcc_lo, 5, v20
	s_delay_alu instid0(VALU_DEP_4) | instskip(NEXT) | instid1(VALU_DEP_4)
	v_and_or_b32 v8, 0x8000, v9, v8
	v_cndmask_b32_e64 v12, 0x7c00, v16, s1
	v_and_b32_e32 v9, 0xffff, v4
	v_lshl_or_b32 v6, v6, 9, 0x7c00
	s_or_b32 vcc_lo, s0, vcc_lo
	v_add_co_ci_u32_e32 v5, vcc_lo, 0, v5, vcc_lo
	v_cmp_ne_u32_e32 vcc_lo, 0, v10
	v_cndmask_b32_e64 v10, 0, 1, vcc_lo
	v_cmp_eq_u32_e32 vcc_lo, 0x40f, v17
	s_delay_alu instid0(VALU_DEP_2) | instskip(SKIP_2) | instid1(VALU_DEP_2)
	v_lshl_or_b32 v10, v10, 9, 0x7c00
	v_cndmask_b32_e32 v6, v12, v6, vcc_lo
	v_cmp_gt_i32_e32 vcc_lo, 31, v22
	v_and_or_b32 v6, 0x8000, v7, v6
	v_cndmask_b32_e32 v5, 0x7c00, v5, vcc_lo
	v_cmp_eq_u32_e32 vcc_lo, 0x40f, v22
	s_delay_alu instid0(VALU_DEP_2) | instskip(SKIP_4) | instid1(VALU_DEP_4)
	v_cndmask_b32_e32 v7, v5, v10, vcc_lo
	v_lshrrev_b32_e32 v10, 16, v11
	v_add_co_u32 v4, vcc_lo, v13, s11
	v_add_co_ci_u32_e32 v5, vcc_lo, s10, v14, vcc_lo
	v_lshl_or_b32 v11, v8, 16, v9
	v_and_or_b32 v8, 0x8000, v10, v7
	v_and_b32_e32 v9, 0xffff, v6
	v_add_co_u32 v6, vcc_lo, v4, s11
	v_add_co_ci_u32_e32 v7, vcc_lo, s10, v5, vcc_lo
	s_delay_alu instid0(VALU_DEP_3) | instskip(NEXT) | instid1(VALU_DEP_3)
	v_lshl_or_b32 v10, v8, 16, v9
	v_add_co_u32 v8, vcc_lo, v6, s11
	s_delay_alu instid0(VALU_DEP_3)
	v_add_co_ci_u32_e32 v9, vcc_lo, s10, v7, vcc_lo
	global_store_b32 v[0:1], v3, off
	global_store_b32 v[13:14], v15, off
	;; [unrolled: 1-line block ×5, first 2 shown]
.LBB0_2:
	s_nop 0
	s_sendmsg sendmsg(MSG_DEALLOC_VGPRS)
	s_endpgm
	.section	.rodata,"a",@progbits
	.p2align	6, 0x0
	.amdhsa_kernel bluestein_single_back_len3840_dim1_half_op_CI_CI
		.amdhsa_group_segment_fixed_size 15360
		.amdhsa_private_segment_fixed_size 364
		.amdhsa_kernarg_size 104
		.amdhsa_user_sgpr_count 15
		.amdhsa_user_sgpr_dispatch_ptr 0
		.amdhsa_user_sgpr_queue_ptr 0
		.amdhsa_user_sgpr_kernarg_segment_ptr 1
		.amdhsa_user_sgpr_dispatch_id 0
		.amdhsa_user_sgpr_private_segment_size 0
		.amdhsa_wavefront_size32 1
		.amdhsa_uses_dynamic_stack 0
		.amdhsa_enable_private_segment 1
		.amdhsa_system_sgpr_workgroup_id_x 1
		.amdhsa_system_sgpr_workgroup_id_y 0
		.amdhsa_system_sgpr_workgroup_id_z 0
		.amdhsa_system_sgpr_workgroup_info 0
		.amdhsa_system_vgpr_workitem_id 0
		.amdhsa_next_free_vgpr 256
		.amdhsa_next_free_sgpr 20
		.amdhsa_reserve_vcc 1
		.amdhsa_float_round_mode_32 0
		.amdhsa_float_round_mode_16_64 0
		.amdhsa_float_denorm_mode_32 3
		.amdhsa_float_denorm_mode_16_64 3
		.amdhsa_dx10_clamp 1
		.amdhsa_ieee_mode 1
		.amdhsa_fp16_overflow 0
		.amdhsa_workgroup_processor_mode 1
		.amdhsa_memory_ordered 1
		.amdhsa_forward_progress 0
		.amdhsa_shared_vgpr_count 0
		.amdhsa_exception_fp_ieee_invalid_op 0
		.amdhsa_exception_fp_denorm_src 0
		.amdhsa_exception_fp_ieee_div_zero 0
		.amdhsa_exception_fp_ieee_overflow 0
		.amdhsa_exception_fp_ieee_underflow 0
		.amdhsa_exception_fp_ieee_inexact 0
		.amdhsa_exception_int_div_zero 0
	.end_amdhsa_kernel
	.text
.Lfunc_end0:
	.size	bluestein_single_back_len3840_dim1_half_op_CI_CI, .Lfunc_end0-bluestein_single_back_len3840_dim1_half_op_CI_CI
                                        ; -- End function
	.section	.AMDGPU.csdata,"",@progbits
; Kernel info:
; codeLenInByte = 64164
; NumSgprs: 22
; NumVgprs: 256
; ScratchSize: 364
; MemoryBound: 0
; FloatMode: 240
; IeeeMode: 1
; LDSByteSize: 15360 bytes/workgroup (compile time only)
; SGPRBlocks: 2
; VGPRBlocks: 31
; NumSGPRsForWavesPerEU: 22
; NumVGPRsForWavesPerEU: 256
; Occupancy: 5
; WaveLimiterHint : 1
; COMPUTE_PGM_RSRC2:SCRATCH_EN: 1
; COMPUTE_PGM_RSRC2:USER_SGPR: 15
; COMPUTE_PGM_RSRC2:TRAP_HANDLER: 0
; COMPUTE_PGM_RSRC2:TGID_X_EN: 1
; COMPUTE_PGM_RSRC2:TGID_Y_EN: 0
; COMPUTE_PGM_RSRC2:TGID_Z_EN: 0
; COMPUTE_PGM_RSRC2:TIDIG_COMP_CNT: 0
	.text
	.p2alignl 7, 3214868480
	.fill 96, 4, 3214868480
	.type	__hip_cuid_1e78862eee1f72b4,@object ; @__hip_cuid_1e78862eee1f72b4
	.section	.bss,"aw",@nobits
	.globl	__hip_cuid_1e78862eee1f72b4
__hip_cuid_1e78862eee1f72b4:
	.byte	0                               ; 0x0
	.size	__hip_cuid_1e78862eee1f72b4, 1

	.ident	"AMD clang version 19.0.0git (https://github.com/RadeonOpenCompute/llvm-project roc-6.4.0 25133 c7fe45cf4b819c5991fe208aaa96edf142730f1d)"
	.section	".note.GNU-stack","",@progbits
	.addrsig
	.addrsig_sym __hip_cuid_1e78862eee1f72b4
	.amdgpu_metadata
---
amdhsa.kernels:
  - .args:
      - .actual_access:  read_only
        .address_space:  global
        .offset:         0
        .size:           8
        .value_kind:     global_buffer
      - .actual_access:  read_only
        .address_space:  global
        .offset:         8
        .size:           8
        .value_kind:     global_buffer
      - .actual_access:  read_only
        .address_space:  global
        .offset:         16
        .size:           8
        .value_kind:     global_buffer
      - .actual_access:  read_only
        .address_space:  global
        .offset:         24
        .size:           8
        .value_kind:     global_buffer
      - .actual_access:  read_only
        .address_space:  global
        .offset:         32
        .size:           8
        .value_kind:     global_buffer
      - .offset:         40
        .size:           8
        .value_kind:     by_value
      - .address_space:  global
        .offset:         48
        .size:           8
        .value_kind:     global_buffer
      - .address_space:  global
        .offset:         56
        .size:           8
        .value_kind:     global_buffer
      - .address_space:  global
        .offset:         64
        .size:           8
        .value_kind:     global_buffer
      - .address_space:  global
        .offset:         72
        .size:           8
        .value_kind:     global_buffer
      - .offset:         80
        .size:           4
        .value_kind:     by_value
      - .address_space:  global
        .offset:         88
        .size:           8
        .value_kind:     global_buffer
      - .address_space:  global
        .offset:         96
        .size:           8
        .value_kind:     global_buffer
    .group_segment_fixed_size: 15360
    .kernarg_segment_align: 8
    .kernarg_segment_size: 104
    .language:       OpenCL C
    .language_version:
      - 2
      - 0
    .max_flat_workgroup_size: 128
    .name:           bluestein_single_back_len3840_dim1_half_op_CI_CI
    .private_segment_fixed_size: 364
    .sgpr_count:     22
    .sgpr_spill_count: 0
    .symbol:         bluestein_single_back_len3840_dim1_half_op_CI_CI.kd
    .uniform_work_group_size: 1
    .uses_dynamic_stack: false
    .vgpr_count:     256
    .vgpr_spill_count: 90
    .wavefront_size: 32
    .workgroup_processor_mode: 1
amdhsa.target:   amdgcn-amd-amdhsa--gfx1100
amdhsa.version:
  - 1
  - 2
...

	.end_amdgpu_metadata
